;; amdgpu-corpus repo=ROCm/rocFFT kind=compiled arch=gfx950 opt=O3
	.text
	.amdgcn_target "amdgcn-amd-amdhsa--gfx950"
	.amdhsa_code_object_version 6
	.protected	bluestein_single_back_len1350_dim1_dp_op_CI_CI ; -- Begin function bluestein_single_back_len1350_dim1_dp_op_CI_CI
	.globl	bluestein_single_back_len1350_dim1_dp_op_CI_CI
	.p2align	8
	.type	bluestein_single_back_len1350_dim1_dp_op_CI_CI,@function
bluestein_single_back_len1350_dim1_dp_op_CI_CI: ; @bluestein_single_back_len1350_dim1_dp_op_CI_CI
; %bb.0:
	s_load_dwordx4 s[12:15], s[0:1], 0x28
	v_mul_u32_u24_e32 v1, 0x1e6, v0
	v_mov_b32_e32 v223, 0
	v_add_u32_sdwa v224, s2, v1 dst_sel:DWORD dst_unused:UNUSED_PAD src0_sel:DWORD src1_sel:WORD_1
	v_mov_b32_e32 v225, v223
	s_waitcnt lgkmcnt(0)
	v_cmp_gt_u64_e32 vcc, s[12:13], v[224:225]
	s_and_saveexec_b64 s[2:3], vcc
	s_cbranch_execz .LBB0_26
; %bb.1:
	s_load_dwordx4 s[4:7], s[0:1], 0x18
	s_load_dwordx4 s[8:11], s[0:1], 0x0
	v_mov_b32_e32 v2, s14
	v_mov_b32_e32 v3, s15
	s_movk_i32 s2, 0x87
	s_waitcnt lgkmcnt(0)
	s_load_dwordx4 s[12:15], s[4:5], 0x0
	v_mul_lo_u16_sdwa v1, v1, s2 dst_sel:DWORD dst_unused:UNUSED_PAD src0_sel:WORD_1 src1_sel:DWORD
	v_sub_u16_e32 v222, v0, v1
	v_mov_b32_e32 v76, 0x10e0
	v_lshlrev_b32_e32 v220, 4, v222
	s_waitcnt lgkmcnt(0)
	v_mad_u64_u32 v[0:1], s[2:3], s14, v224, 0
	v_mov_b32_e32 v4, v1
	v_mad_u64_u32 v[4:5], s[2:3], s15, v224, v[4:5]
	v_mov_b32_e32 v1, v4
	v_mad_u64_u32 v[4:5], s[2:3], s12, v222, 0
	v_mov_b32_e32 v6, v5
	v_mad_u64_u32 v[6:7], s[2:3], s13, v222, v[6:7]
	v_mov_b32_e32 v5, v6
	v_lshl_add_u64 v[0:1], v[0:1], 4, v[2:3]
	v_lshl_add_u64 v[4:5], v[4:5], 4, v[0:1]
	v_mov_b32_e32 v221, v223
	v_mad_u64_u32 v[8:9], s[2:3], s12, v76, v[4:5]
	v_lshl_add_u64 v[16:17], s[8:9], 0, v[220:221]
	s_movk_i32 s3, 0x1000
	global_load_dwordx4 v[40:43], v[4:5], off
	global_load_dwordx4 v[0:3], v220, s[8:9]
	s_mul_i32 s2, s13, 0x10e0
	v_add_co_u32_e32 v28, vcc, s3, v16
	v_add_u32_e32 v9, s2, v9
	s_nop 0
	v_addc_co_u32_e32 v29, vcc, 0, v17, vcc
	s_movk_i32 s3, 0x2000
	global_load_dwordx4 v[4:7], v[28:29], off offset:224
	v_mad_u64_u32 v[12:13], s[4:5], s12, v76, v[8:9]
	v_add_co_u32_e32 v32, vcc, s3, v16
	v_add_u32_e32 v13, s2, v13
	global_load_dwordx4 v[48:51], v[8:9], off
	global_load_dwordx4 v[44:47], v[12:13], off
	v_addc_co_u32_e32 v33, vcc, 0, v17, vcc
	s_movk_i32 s3, 0x3000
	global_load_dwordx4 v[8:11], v[32:33], off offset:448
	v_mad_u64_u32 v[18:19], s[4:5], s12, v76, v[12:13]
	v_add_co_u32_e32 v36, vcc, s3, v16
	v_add_u32_e32 v19, s2, v19
	s_nop 0
	v_addc_co_u32_e32 v37, vcc, 0, v17, vcc
	global_load_dwordx4 v[12:15], v[36:37], off offset:672
	s_movk_i32 s3, 0x4000
	v_mad_u64_u32 v[20:21], s[4:5], s12, v76, v[18:19]
	v_add_co_u32_e32 v80, vcc, s3, v16
	v_add_u32_e32 v21, s2, v21
	global_load_dwordx4 v[56:59], v[18:19], off
	global_load_dwordx4 v[52:55], v[20:21], off
	v_addc_co_u32_e32 v81, vcc, 0, v17, vcc
	v_mov_b32_e32 v22, 0xffffc4f0
	s_mul_i32 s3, s13, 0xffffc4f0
	global_load_dwordx4 v[16:19], v[80:81], off offset:896
	v_mad_u64_u32 v[24:25], s[4:5], s12, v22, v[20:21]
	s_sub_i32 s3, s3, s12
	v_add_u32_e32 v25, s3, v25
	global_load_dwordx4 v[60:63], v[24:25], off
	global_load_dwordx4 v[20:23], v220, s[8:9] offset:2160
	v_mad_u64_u32 v[30:31], s[4:5], s12, v76, v[24:25]
	v_add_u32_e32 v31, s2, v31
	global_load_dwordx4 v[64:67], v[30:31], off
	global_load_dwordx4 v[24:27], v[28:29], off offset:2384
	v_mad_u64_u32 v[34:35], s[4:5], s12, v76, v[30:31]
	v_add_u32_e32 v35, s2, v35
	global_load_dwordx4 v[68:71], v[34:35], off
	global_load_dwordx4 v[28:31], v[32:33], off offset:2608
	;; [unrolled: 4-line block ×4, first 2 shown]
	s_load_dwordx4 s[4:7], s[6:7], 0x0
	s_mov_b32 s18, 0x134454ff
	s_mov_b32 s19, 0x3fee6f0e
	;; [unrolled: 1-line block ×10, first 2 shown]
	s_mov_b64 s[2:3], 0x87
	v_lshl_add_u64 v[226:227], v[222:223], 0, s[2:3]
	s_movk_i32 s2, 0xcd
	v_cmp_gt_u16_e32 vcc, 45, v222
                                        ; implicit-def: $vgpr144_vgpr145
                                        ; implicit-def: $vgpr152_vgpr153
	s_waitcnt vmcnt(18)
	v_mul_f64 v[80:81], v[42:43], v[2:3]
	v_fmac_f64_e32 v[80:81], v[40:41], v[0:1]
	v_mul_f64 v[40:41], v[40:41], v[2:3]
	v_fma_f64 v[82:83], v[42:43], v[0:1], -v[40:41]
	ds_write_b128 v220, v[80:83]
	s_waitcnt vmcnt(16)
	v_mul_f64 v[40:41], v[50:51], v[6:7]
	v_mul_f64 v[42:43], v[48:49], v[6:7]
	v_fmac_f64_e32 v[40:41], v[48:49], v[4:5]
	v_fma_f64 v[42:43], v[50:51], v[4:5], -v[42:43]
	ds_write_b128 v220, v[40:43] offset:4320
	s_waitcnt vmcnt(14)
	v_mul_f64 v[40:41], v[46:47], v[10:11]
	v_mul_f64 v[42:43], v[44:45], v[10:11]
	v_fmac_f64_e32 v[40:41], v[44:45], v[8:9]
	v_fma_f64 v[42:43], v[46:47], v[8:9], -v[42:43]
	ds_write_b128 v220, v[40:43] offset:8640
	s_waitcnt vmcnt(12)
	v_mul_f64 v[40:41], v[58:59], v[14:15]
	v_mul_f64 v[42:43], v[56:57], v[14:15]
	v_fmac_f64_e32 v[40:41], v[56:57], v[12:13]
	v_fma_f64 v[42:43], v[58:59], v[12:13], -v[42:43]
	ds_write_b128 v220, v[40:43] offset:12960
	s_waitcnt vmcnt(10)
	v_mul_f64 v[40:41], v[54:55], v[18:19]
	v_mul_f64 v[42:43], v[52:53], v[18:19]
	v_fmac_f64_e32 v[40:41], v[52:53], v[16:17]
	v_fma_f64 v[42:43], v[54:55], v[16:17], -v[42:43]
	ds_write_b128 v220, v[40:43] offset:17280
	s_waitcnt vmcnt(8)
	v_mul_f64 v[40:41], v[62:63], v[22:23]
	v_mul_f64 v[42:43], v[60:61], v[22:23]
	v_fmac_f64_e32 v[40:41], v[60:61], v[20:21]
	v_fma_f64 v[42:43], v[62:63], v[20:21], -v[42:43]
	ds_write_b128 v220, v[40:43] offset:2160
	s_waitcnt vmcnt(6)
	v_mul_f64 v[40:41], v[66:67], v[26:27]
	v_mul_f64 v[42:43], v[64:65], v[26:27]
	v_fmac_f64_e32 v[40:41], v[64:65], v[24:25]
	v_fma_f64 v[42:43], v[66:67], v[24:25], -v[42:43]
	ds_write_b128 v220, v[40:43] offset:6480
	s_waitcnt vmcnt(4)
	v_mul_f64 v[40:41], v[70:71], v[30:31]
	v_mul_f64 v[42:43], v[68:69], v[30:31]
	v_fmac_f64_e32 v[40:41], v[68:69], v[28:29]
	v_fma_f64 v[42:43], v[70:71], v[28:29], -v[42:43]
	ds_write_b128 v220, v[40:43] offset:10800
	s_waitcnt vmcnt(2)
	v_mul_f64 v[40:41], v[74:75], v[34:35]
	v_mul_f64 v[42:43], v[72:73], v[34:35]
	v_fmac_f64_e32 v[40:41], v[72:73], v[32:33]
	v_fma_f64 v[42:43], v[74:75], v[32:33], -v[42:43]
	ds_write_b128 v220, v[40:43] offset:15120
	s_waitcnt vmcnt(0)
	v_mul_f64 v[40:41], v[78:79], v[38:39]
	v_mul_f64 v[42:43], v[76:77], v[38:39]
	v_fmac_f64_e32 v[40:41], v[76:77], v[36:37]
	v_fma_f64 v[42:43], v[78:79], v[36:37], -v[42:43]
	ds_write_b128 v220, v[40:43] offset:19440
	s_waitcnt lgkmcnt(0)
	s_barrier
	ds_read_b128 v[44:47], v220
	ds_read_b128 v[40:43], v220 offset:2160
	ds_read_b128 v[80:83], v220 offset:4320
	;; [unrolled: 1-line block ×9, first 2 shown]
	s_waitcnt lgkmcnt(7)
	v_add_f64 v[48:49], v[44:45], v[80:81]
	s_waitcnt lgkmcnt(5)
	v_add_f64 v[48:49], v[48:49], v[84:85]
	;; [unrolled: 2-line block ×4, first 2 shown]
	v_add_f64 v[48:49], v[84:85], v[88:89]
	v_fma_f64 v[48:49], -0.5, v[48:49], v[44:45]
	v_add_f64 v[50:51], v[82:83], -v[94:95]
	v_fma_f64 v[52:53], s[18:19], v[50:51], v[48:49]
	v_add_f64 v[54:55], v[86:87], -v[90:91]
	v_add_f64 v[56:57], v[80:81], -v[84:85]
	;; [unrolled: 1-line block ×3, first 2 shown]
	v_fmac_f64_e32 v[48:49], s[16:17], v[50:51]
	v_fmac_f64_e32 v[52:53], s[20:21], v[54:55]
	v_add_f64 v[56:57], v[56:57], v[58:59]
	v_fmac_f64_e32 v[48:49], s[12:13], v[54:55]
	v_fmac_f64_e32 v[52:53], s[14:15], v[56:57]
	v_fmac_f64_e32 v[48:49], s[14:15], v[56:57]
	v_add_f64 v[56:57], v[80:81], v[92:93]
	v_fmac_f64_e32 v[44:45], -0.5, v[56:57]
	v_fma_f64 v[56:57], s[16:17], v[54:55], v[44:45]
	v_fmac_f64_e32 v[44:45], s[18:19], v[54:55]
	v_fmac_f64_e32 v[56:57], s[20:21], v[50:51]
	v_fmac_f64_e32 v[44:45], s[12:13], v[50:51]
	v_add_f64 v[50:51], v[46:47], v[82:83]
	v_add_f64 v[50:51], v[50:51], v[86:87]
	v_add_f64 v[58:59], v[84:85], -v[80:81]
	v_add_f64 v[74:75], v[88:89], -v[92:93]
	v_add_f64 v[50:51], v[50:51], v[90:91]
	v_add_f64 v[58:59], v[58:59], v[74:75]
	;; [unrolled: 1-line block ×4, first 2 shown]
	v_fma_f64 v[50:51], -0.5, v[50:51], v[46:47]
	v_add_f64 v[80:81], v[80:81], -v[92:93]
	v_fmac_f64_e32 v[56:57], s[14:15], v[58:59]
	v_fmac_f64_e32 v[44:45], s[14:15], v[58:59]
	v_fma_f64 v[54:55], s[16:17], v[80:81], v[50:51]
	v_add_f64 v[84:85], v[84:85], -v[88:89]
	v_add_f64 v[58:59], v[82:83], -v[86:87]
	;; [unrolled: 1-line block ×3, first 2 shown]
	v_fmac_f64_e32 v[50:51], s[18:19], v[80:81]
	v_fmac_f64_e32 v[54:55], s[12:13], v[84:85]
	v_add_f64 v[58:59], v[58:59], v[88:89]
	v_fmac_f64_e32 v[50:51], s[20:21], v[84:85]
	v_fmac_f64_e32 v[54:55], s[14:15], v[58:59]
	;; [unrolled: 1-line block ×3, first 2 shown]
	v_add_f64 v[58:59], v[82:83], v[94:95]
	v_fmac_f64_e32 v[46:47], -0.5, v[58:59]
	v_fma_f64 v[58:59], s[18:19], v[84:85], v[46:47]
	v_fmac_f64_e32 v[46:47], s[16:17], v[84:85]
	v_fmac_f64_e32 v[58:59], s[12:13], v[80:81]
	;; [unrolled: 1-line block ×3, first 2 shown]
	v_add_f64 v[80:81], v[40:41], v[60:61]
	v_add_f64 v[80:81], v[80:81], v[76:77]
	v_add_f64 v[82:83], v[86:87], -v[82:83]
	v_add_f64 v[86:87], v[90:91], -v[94:95]
	v_add_f64 v[80:81], v[80:81], v[64:65]
	v_add_f64 v[82:83], v[82:83], v[86:87]
	s_waitcnt lgkmcnt(0)
	v_add_f64 v[88:89], v[80:81], v[68:69]
	v_add_f64 v[80:81], v[76:77], v[64:65]
	v_fmac_f64_e32 v[58:59], s[14:15], v[82:83]
	v_fmac_f64_e32 v[46:47], s[14:15], v[82:83]
	v_fma_f64 v[80:81], -0.5, v[80:81], v[40:41]
	v_add_f64 v[82:83], v[62:63], -v[70:71]
	v_fma_f64 v[84:85], s[18:19], v[82:83], v[80:81]
	v_add_f64 v[86:87], v[78:79], -v[66:67]
	v_add_f64 v[90:91], v[60:61], -v[76:77]
	;; [unrolled: 1-line block ×3, first 2 shown]
	v_fmac_f64_e32 v[80:81], s[16:17], v[82:83]
	v_fmac_f64_e32 v[84:85], s[20:21], v[86:87]
	v_add_f64 v[90:91], v[90:91], v[92:93]
	v_fmac_f64_e32 v[80:81], s[12:13], v[86:87]
	v_fmac_f64_e32 v[84:85], s[14:15], v[90:91]
	;; [unrolled: 1-line block ×3, first 2 shown]
	v_add_f64 v[90:91], v[60:61], v[68:69]
	v_fmac_f64_e32 v[40:41], -0.5, v[90:91]
	v_fma_f64 v[92:93], s[16:17], v[86:87], v[40:41]
	v_fmac_f64_e32 v[40:41], s[18:19], v[86:87]
	v_fmac_f64_e32 v[92:93], s[20:21], v[82:83]
	;; [unrolled: 1-line block ×3, first 2 shown]
	v_add_f64 v[82:83], v[42:43], v[62:63]
	v_add_f64 v[90:91], v[76:77], -v[60:61]
	v_add_f64 v[94:95], v[64:65], -v[68:69]
	v_add_f64 v[82:83], v[82:83], v[78:79]
	v_add_f64 v[90:91], v[90:91], v[94:95]
	;; [unrolled: 1-line block ×3, first 2 shown]
	v_fmac_f64_e32 v[92:93], s[14:15], v[90:91]
	v_fmac_f64_e32 v[40:41], s[14:15], v[90:91]
	v_add_f64 v[90:91], v[82:83], v[70:71]
	v_add_f64 v[82:83], v[78:79], v[66:67]
	v_fma_f64 v[82:83], -0.5, v[82:83], v[42:43]
	v_add_f64 v[60:61], v[60:61], -v[68:69]
	v_fma_f64 v[86:87], s[16:17], v[60:61], v[82:83]
	v_add_f64 v[64:65], v[76:77], -v[64:65]
	v_add_f64 v[68:69], v[62:63], -v[78:79]
	v_add_f64 v[76:77], v[70:71], -v[66:67]
	v_fmac_f64_e32 v[82:83], s[18:19], v[60:61]
	v_fmac_f64_e32 v[86:87], s[12:13], v[64:65]
	v_add_f64 v[68:69], v[68:69], v[76:77]
	v_fmac_f64_e32 v[82:83], s[20:21], v[64:65]
	v_fmac_f64_e32 v[86:87], s[14:15], v[68:69]
	;; [unrolled: 1-line block ×3, first 2 shown]
	v_add_f64 v[68:69], v[62:63], v[70:71]
	v_fmac_f64_e32 v[42:43], -0.5, v[68:69]
	v_fma_f64 v[94:95], s[18:19], v[64:65], v[42:43]
	v_fmac_f64_e32 v[42:43], s[16:17], v[64:65]
	v_fmac_f64_e32 v[94:95], s[12:13], v[60:61]
	;; [unrolled: 1-line block ×3, first 2 shown]
	v_mul_lo_u16_e32 v60, 5, v222
	v_lshlrev_b32_e32 v221, 4, v60
	v_add_f64 v[62:63], v[78:79], -v[62:63]
	v_add_f64 v[66:67], v[66:67], -v[70:71]
	s_barrier
	ds_write_b128 v221, v[72:75]
	ds_write_b128 v221, v[52:55] offset:16
	ds_write_b128 v221, v[56:59] offset:32
	;; [unrolled: 1-line block ×4, first 2 shown]
	v_mul_u32_u24_e32 v44, 5, v226
	v_add_f64 v[62:63], v[62:63], v[66:67]
	v_lshlrev_b32_e32 v225, 4, v44
	v_fmac_f64_e32 v[94:95], s[14:15], v[62:63]
	v_fmac_f64_e32 v[42:43], s[14:15], v[62:63]
	ds_write_b128 v225, v[88:91]
	ds_write_b128 v225, v[84:87] offset:16
	ds_write_b128 v225, v[92:95] offset:32
	;; [unrolled: 1-line block ×4, first 2 shown]
	v_mul_lo_u16_sdwa v40, v222, s2 dst_sel:DWORD dst_unused:UNUSED_PAD src0_sel:BYTE_0 src1_sel:DWORD
	v_lshrrev_b16_e32 v102, 10, v40
	v_mul_lo_u16_e32 v40, 5, v102
	v_sub_u16_e32 v40, v222, v40
	v_and_b32_e32 v103, 0xff, v40
	s_movk_i32 s2, 0x90
	v_mov_b64_e32 v[40:41], s[10:11]
	v_mad_u64_u32 v[76:77], s[2:3], v103, s2, v[40:41]
	s_waitcnt lgkmcnt(0)
	s_barrier
	global_load_dwordx4 v[52:55], v[76:77], off
	global_load_dwordx4 v[48:51], v[76:77], off offset:16
	global_load_dwordx4 v[44:47], v[76:77], off offset:32
	;; [unrolled: 1-line block ×8, first 2 shown]
	ds_read_b128 v[76:79], v220
	ds_read_b128 v[84:87], v220 offset:2160
	ds_read_b128 v[88:91], v220 offset:4320
	;; [unrolled: 1-line block ×9, first 2 shown]
	s_load_dwordx2 s[2:3], s[0:1], 0x38
	s_mov_b32 s0, 0x9b97f4a8
	s_mov_b32 s1, 0x3fe9e377
	s_waitcnt lgkmcnt(0)
	s_barrier
	s_waitcnt vmcnt(8)
	v_mul_f64 v[80:81], v[86:87], v[54:55]
	v_fma_f64 v[82:83], v[84:85], v[52:53], -v[80:81]
	s_waitcnt vmcnt(7)
	v_mul_f64 v[80:81], v[90:91], v[50:51]
	v_fma_f64 v[96:97], v[88:89], v[48:49], -v[80:81]
	;; [unrolled: 3-line block ×4, first 2 shown]
	v_mul_f64 v[104:105], v[104:105], v[42:43]
	s_waitcnt vmcnt(4)
	v_mul_f64 v[80:81], v[110:111], v[70:71]
	v_fmac_f64_e32 v[104:105], v[106:107], v[40:41]
	v_fma_f64 v[106:107], v[108:109], v[68:69], -v[80:81]
	s_waitcnt vmcnt(3)
	v_mul_f64 v[80:81], v[114:115], v[66:67]
	v_mul_f64 v[100:101], v[108:109], v[70:71]
	v_fma_f64 v[108:109], v[112:113], v[64:65], -v[80:81]
	s_waitcnt vmcnt(2)
	v_mul_f64 v[80:81], v[118:119], v[62:63]
	v_fmac_f64_e32 v[100:101], v[110:111], v[68:69]
	v_mul_f64 v[110:111], v[112:113], v[66:67]
	v_fma_f64 v[112:113], v[116:117], v[60:61], -v[80:81]
	s_waitcnt vmcnt(1)
	v_mul_f64 v[80:81], v[122:123], v[58:59]
	v_fmac_f64_e32 v[110:111], v[114:115], v[64:65]
	;; [unrolled: 5-line block ×3, first 2 shown]
	v_mul_f64 v[118:119], v[120:121], v[58:59]
	v_fma_f64 v[120:121], v[124:125], v[72:73], -v[80:81]
	v_add_f64 v[80:81], v[76:77], v[96:97]
	v_add_f64 v[80:81], v[80:81], v[132:133]
	v_mul_f64 v[128:129], v[88:89], v[50:51]
	v_add_f64 v[80:81], v[80:81], v[108:109]
	v_mul_f64 v[84:85], v[84:85], v[54:55]
	v_fmac_f64_e32 v[128:129], v[90:91], v[48:49]
	v_fmac_f64_e32 v[118:119], v[122:123], v[56:57]
	v_add_f64 v[88:89], v[80:81], v[116:117]
	v_add_f64 v[80:81], v[132:133], v[108:109]
	v_fmac_f64_e32 v[84:85], v[86:87], v[52:53]
	v_mul_f64 v[98:99], v[92:93], v[46:47]
	v_fma_f64 v[86:87], -0.5, v[80:81], v[76:77]
	v_add_f64 v[80:81], v[128:129], -v[118:119]
	v_fmac_f64_e32 v[98:99], v[94:95], v[44:45]
	v_mul_f64 v[122:123], v[124:125], v[74:75]
	v_fma_f64 v[90:91], s[18:19], v[80:81], v[86:87]
	v_add_f64 v[92:93], v[104:105], -v[110:111]
	v_add_f64 v[94:95], v[96:97], -v[132:133]
	v_add_f64 v[124:125], v[116:117], -v[108:109]
	v_fmac_f64_e32 v[86:87], s[16:17], v[80:81]
	v_fmac_f64_e32 v[90:91], s[20:21], v[92:93]
	v_add_f64 v[94:95], v[94:95], v[124:125]
	v_fmac_f64_e32 v[86:87], s[12:13], v[92:93]
	v_fmac_f64_e32 v[90:91], s[14:15], v[94:95]
	;; [unrolled: 1-line block ×3, first 2 shown]
	v_add_f64 v[94:95], v[96:97], v[116:117]
	v_fmac_f64_e32 v[76:77], -0.5, v[94:95]
	v_fma_f64 v[94:95], s[16:17], v[92:93], v[76:77]
	v_fmac_f64_e32 v[76:77], s[18:19], v[92:93]
	v_fmac_f64_e32 v[94:95], s[20:21], v[80:81]
	;; [unrolled: 1-line block ×3, first 2 shown]
	v_add_f64 v[80:81], v[78:79], v[128:129]
	v_add_f64 v[80:81], v[80:81], v[104:105]
	;; [unrolled: 1-line block ×3, first 2 shown]
	v_fmac_f64_e32 v[122:123], v[126:127], v[72:73]
	v_add_f64 v[124:125], v[132:133], -v[96:97]
	v_add_f64 v[126:127], v[108:109], -v[116:117]
	v_add_f64 v[92:93], v[80:81], v[118:119]
	v_add_f64 v[80:81], v[104:105], v[110:111]
	v_add_f64 v[124:125], v[124:125], v[126:127]
	v_fma_f64 v[80:81], -0.5, v[80:81], v[78:79]
	v_add_f64 v[116:117], v[96:97], -v[116:117]
	v_fmac_f64_e32 v[94:95], s[14:15], v[124:125]
	v_fmac_f64_e32 v[76:77], s[14:15], v[124:125]
	v_fma_f64 v[96:97], s[16:17], v[116:117], v[80:81]
	v_add_f64 v[108:109], v[132:133], -v[108:109]
	v_add_f64 v[124:125], v[128:129], -v[104:105]
	;; [unrolled: 1-line block ×3, first 2 shown]
	v_fmac_f64_e32 v[80:81], s[18:19], v[116:117]
	v_fmac_f64_e32 v[96:97], s[12:13], v[108:109]
	v_add_f64 v[124:125], v[124:125], v[126:127]
	v_fmac_f64_e32 v[80:81], s[20:21], v[108:109]
	v_fmac_f64_e32 v[96:97], s[14:15], v[124:125]
	;; [unrolled: 1-line block ×3, first 2 shown]
	v_add_f64 v[124:125], v[128:129], v[118:119]
	v_fmac_f64_e32 v[78:79], -0.5, v[124:125]
	v_fma_f64 v[124:125], s[18:19], v[108:109], v[78:79]
	v_add_f64 v[104:105], v[104:105], -v[128:129]
	v_add_f64 v[110:111], v[110:111], -v[118:119]
	v_fmac_f64_e32 v[78:79], s[16:17], v[108:109]
	v_fmac_f64_e32 v[124:125], s[12:13], v[116:117]
	v_add_f64 v[104:105], v[104:105], v[110:111]
	v_fmac_f64_e32 v[78:79], s[20:21], v[116:117]
	v_fmac_f64_e32 v[124:125], s[14:15], v[104:105]
	;; [unrolled: 1-line block ×3, first 2 shown]
	v_add_f64 v[104:105], v[82:83], v[130:131]
	v_add_f64 v[104:105], v[104:105], v[106:107]
	;; [unrolled: 1-line block ×5, first 2 shown]
	v_fma_f64 v[118:119], -0.5, v[104:105], v[82:83]
	v_add_f64 v[104:105], v[98:99], -v[122:123]
	v_fma_f64 v[110:111], s[18:19], v[104:105], v[118:119]
	v_add_f64 v[108:109], v[100:101], -v[114:115]
	v_add_f64 v[116:117], v[130:131], -v[106:107]
	;; [unrolled: 1-line block ×3, first 2 shown]
	v_fmac_f64_e32 v[118:119], s[16:17], v[104:105]
	v_fmac_f64_e32 v[110:111], s[20:21], v[108:109]
	v_add_f64 v[116:117], v[116:117], v[128:129]
	v_fmac_f64_e32 v[118:119], s[12:13], v[108:109]
	v_fmac_f64_e32 v[110:111], s[14:15], v[116:117]
	;; [unrolled: 1-line block ×3, first 2 shown]
	v_add_f64 v[116:117], v[130:131], v[120:121]
	v_fmac_f64_e32 v[82:83], -0.5, v[116:117]
	v_fma_f64 v[128:129], s[16:17], v[108:109], v[82:83]
	v_fmac_f64_e32 v[82:83], s[18:19], v[108:109]
	v_fmac_f64_e32 v[128:129], s[20:21], v[104:105]
	;; [unrolled: 1-line block ×3, first 2 shown]
	v_add_f64 v[104:105], v[84:85], v[98:99]
	v_add_f64 v[104:105], v[104:105], v[100:101]
	v_add_f64 v[116:117], v[106:107], -v[130:131]
	v_add_f64 v[132:133], v[112:113], -v[120:121]
	v_add_f64 v[104:105], v[104:105], v[114:115]
	v_add_f64 v[116:117], v[116:117], v[132:133]
	;; [unrolled: 1-line block ×4, first 2 shown]
	v_fma_f64 v[134:135], -0.5, v[104:105], v[84:85]
	v_add_f64 v[104:105], v[130:131], -v[120:121]
	v_fma_f64 v[120:121], s[16:17], v[104:105], v[134:135]
	v_add_f64 v[106:107], v[106:107], -v[112:113]
	v_add_f64 v[108:109], v[98:99], -v[100:101]
	;; [unrolled: 1-line block ×3, first 2 shown]
	v_fmac_f64_e32 v[134:135], s[18:19], v[104:105]
	v_fmac_f64_e32 v[120:121], s[12:13], v[106:107]
	v_add_f64 v[108:109], v[108:109], v[112:113]
	v_fmac_f64_e32 v[134:135], s[20:21], v[106:107]
	v_fmac_f64_e32 v[120:121], s[14:15], v[108:109]
	;; [unrolled: 1-line block ×3, first 2 shown]
	v_add_f64 v[108:109], v[98:99], v[122:123]
	v_fmac_f64_e32 v[84:85], -0.5, v[108:109]
	v_fma_f64 v[130:131], s[18:19], v[106:107], v[84:85]
	v_add_f64 v[98:99], v[100:101], -v[98:99]
	v_add_f64 v[100:101], v[114:115], -v[122:123]
	v_fmac_f64_e32 v[84:85], s[16:17], v[106:107]
	v_fmac_f64_e32 v[82:83], s[14:15], v[116:117]
	;; [unrolled: 1-line block ×3, first 2 shown]
	v_add_f64 v[98:99], v[98:99], v[100:101]
	v_fmac_f64_e32 v[84:85], s[20:21], v[104:105]
	v_fmac_f64_e32 v[130:131], s[14:15], v[98:99]
	;; [unrolled: 1-line block ×3, first 2 shown]
	v_mul_f64 v[100:101], v[82:83], s[14:15]
	v_fmac_f64_e32 v[128:129], s[14:15], v[116:117]
	v_mul_f64 v[136:137], v[130:131], s[18:19]
	v_fma_f64 v[138:139], v[84:85], s[18:19], -v[100:101]
	v_mul_f64 v[142:143], v[110:111], s[12:13]
	v_mul_f64 v[84:85], v[84:85], s[14:15]
	;; [unrolled: 1-line block ×3, first 2 shown]
	v_fmac_f64_e32 v[136:137], s[14:15], v[128:129]
	v_fmac_f64_e32 v[142:143], s[0:1], v[120:121]
	v_mul_f64 v[120:121], v[128:129], s[16:17]
	v_fma_f64 v[128:129], v[82:83], s[16:17], -v[84:85]
	v_mul_f64 v[82:83], v[134:135], s[0:1]
	v_fmac_f64_e32 v[122:123], s[0:1], v[110:111]
	v_mul_f64 v[100:101], v[118:119], s[0:1]
	v_fmac_f64_e32 v[120:121], s[14:15], v[130:131]
	v_fma_f64 v[130:131], v[118:119], s[12:13], -v[82:83]
	v_add_f64 v[98:99], v[88:89], v[126:127]
	v_add_f64 v[104:105], v[90:91], v[122:123]
	v_fma_f64 v[140:141], v[134:135], s[20:21], -v[100:101]
	v_add_f64 v[106:107], v[96:97], v[142:143]
	v_add_f64 v[118:119], v[80:81], v[130:131]
	v_add_f64 v[82:83], v[88:89], -v[126:127]
	v_add_f64 v[88:89], v[90:91], -v[122:123]
	;; [unrolled: 1-line block ×4, first 2 shown]
	v_mul_u32_u24_e32 v80, 50, v102
	v_add_f64 v[108:109], v[94:95], v[136:137]
	v_add_f64 v[112:113], v[76:77], v[138:139]
	;; [unrolled: 1-line block ×6, first 2 shown]
	v_add_lshl_u32 v234, v80, v103, 4
	v_add_f64 v[94:95], v[94:95], -v[136:137]
	v_add_f64 v[76:77], v[76:77], -v[138:139]
	;; [unrolled: 1-line block ×6, first 2 shown]
	ds_write_b128 v234, v[98:101]
	ds_write_b128 v234, v[104:107] offset:80
	ds_write_b128 v234, v[108:111] offset:160
	;; [unrolled: 1-line block ×9, first 2 shown]
	s_waitcnt lgkmcnt(0)
	s_barrier
	ds_read_b128 v[116:119], v220
	ds_read_b128 v[112:115], v220 offset:2160
	ds_read_b128 v[132:135], v220 offset:14400
	;; [unrolled: 1-line block ×8, first 2 shown]
	s_and_saveexec_b64 s[0:1], vcc
	s_cbranch_execz .LBB0_3
; %bb.2:
	ds_read_b128 v[140:143], v220 offset:6480
	ds_read_b128 v[144:147], v220 offset:13680
	;; [unrolled: 1-line block ×3, first 2 shown]
.LBB0_3:
	s_or_b64 exec, exec, s[0:1]
	s_mov_b64 s[0:1], 0x10e
	v_lshrrev_b16_e32 v84, 1, v226
	v_lshl_add_u64 v[228:229], v[222:223], 0, s[0:1]
	v_mov_b32_e32 v76, 41
	v_mul_u32_u24_e32 v84, 0x147b, v84
	v_lshrrev_b16_e32 v190, 1, v228
	v_mul_lo_u16_sdwa v76, v222, v76 dst_sel:DWORD dst_unused:UNUSED_PAD src0_sel:BYTE_0 src1_sel:DWORD
	v_lshrrev_b32_e32 v182, 17, v84
	v_mul_u32_u24_e32 v92, 0x147b, v190
	v_lshrrev_b16_e32 v180, 11, v76
	v_mul_lo_u16_e32 v84, 50, v182
	v_lshrrev_b32_e32 v184, 17, v92
	v_mul_lo_u16_e32 v76, 50, v180
	v_sub_u16_e32 v183, v226, v84
	v_mul_lo_u16_e32 v92, 50, v184
	s_mov_b64 s[0:1], 0x195
	v_sub_u16_e32 v76, v222, v76
	v_lshlrev_b16_e32 v100, 5, v183
	v_mov_b32_e32 v101, 0
	v_sub_u16_e32 v185, v228, v92
	v_lshl_add_u64 v[230:231], v[222:223], 0, s[0:1]
	v_and_b32_e32 v181, 0xff, v76
	v_lshl_add_u64 v[84:85], s[10:11], 0, v[100:101]
	v_lshlrev_b16_e32 v100, 5, v185
	v_lshrrev_b16_e32 v191, 1, v230
	v_lshlrev_b32_e32 v80, 5, v181
	v_lshl_add_u64 v[92:93], s[10:11], 0, v[100:101]
	v_mul_u32_u24_e32 v100, 0x147b, v191
	global_load_dwordx4 v[76:79], v80, s[10:11] offset:736
	s_nop 0
	global_load_dwordx4 v[80:83], v80, s[10:11] offset:720
	s_nop 0
	global_load_dwordx4 v[88:91], v[84:85], off offset:720
	s_nop 0
	global_load_dwordx4 v[84:87], v[84:85], off offset:736
	v_lshrrev_b32_e32 v100, 17, v100
	global_load_dwordx4 v[96:99], v[92:93], off offset:720
	s_nop 0
	global_load_dwordx4 v[92:95], v[92:93], off offset:736
	v_mul_lo_u16_e32 v100, 50, v100
	v_sub_u16_e32 v186, v230, v100
	v_lshlrev_b16_e32 v100, 5, v186
	v_lshl_add_u64 v[100:101], s[10:11], 0, v[100:101]
	global_load_dwordx4 v[104:107], v[100:101], off offset:720
	s_nop 0
	global_load_dwordx4 v[100:103], v[100:101], off offset:736
	s_mov_b32 s0, 0xe8584caa
	s_mov_b32 s1, 0x3febb67a
	s_mov_b32 s13, 0xbfebb67a
	s_mov_b32 s12, s0
	s_waitcnt lgkmcnt(0)
	s_barrier
	v_lshlrev_b32_e32 v235, 4, v186
	s_waitcnt vmcnt(7)
	v_mul_f64 v[162:163], v[132:133], v[78:79]
	s_waitcnt vmcnt(6)
	v_mul_f64 v[156:157], v[150:151], v[82:83]
	;; [unrolled: 2-line block ×4, first 2 shown]
	v_mul_f64 v[170:171], v[128:129], v[86:87]
	v_mul_f64 v[158:159], v[148:149], v[82:83]
	;; [unrolled: 1-line block ×4, first 2 shown]
	v_fma_f64 v[148:149], v[148:149], v[80:81], -v[156:157]
	v_fmac_f64_e32 v[162:163], v[134:135], v[76:77]
	v_fma_f64 v[134:135], v[136:137], v[88:89], -v[164:165]
	v_fma_f64 v[136:137], v[128:129], v[84:85], -v[168:169]
	v_fmac_f64_e32 v[170:171], v[130:131], v[84:85]
	s_waitcnt vmcnt(2)
	v_mul_f64 v[130:131], v[122:123], v[94:95]
	v_fma_f64 v[132:133], v[132:133], v[76:77], -v[160:161]
	v_fmac_f64_e32 v[166:167], v[138:139], v[88:89]
	v_mul_f64 v[128:129], v[126:127], v[98:99]
	v_add_f64 v[138:139], v[116:117], v[148:149]
	v_fma_f64 v[174:175], v[120:121], v[92:93], -v[130:131]
	v_add_f64 v[130:131], v[134:135], v[136:137]
	v_fmac_f64_e32 v[158:159], v[150:151], v[80:81]
	v_mul_f64 v[150:151], v[124:125], v[98:99]
	v_mul_f64 v[156:157], v[120:121], v[94:95]
	v_fma_f64 v[172:173], v[124:125], v[96:97], -v[128:129]
	v_add_f64 v[120:121], v[138:139], v[132:133]
	v_add_f64 v[128:129], v[112:113], v[134:135]
	v_fmac_f64_e32 v[112:113], -0.5, v[130:131]
	v_add_f64 v[130:131], v[166:167], -v[170:171]
	v_add_f64 v[138:139], v[166:167], v[170:171]
	v_add_f64 v[160:161], v[148:149], v[132:133]
	v_add_f64 v[164:165], v[158:159], -v[162:163]
	v_add_f64 v[168:169], v[118:119], v[158:159]
	v_add_f64 v[158:159], v[158:159], v[162:163]
	v_add_f64 v[148:149], v[148:149], -v[132:133]
	v_fmac_f64_e32 v[150:151], v[126:127], v[96:97]
	v_fmac_f64_e32 v[156:157], v[122:123], v[92:93]
	s_waitcnt vmcnt(1)
	v_mul_f64 v[176:177], v[144:145], v[106:107]
	v_add_f64 v[128:129], v[128:129], v[136:137]
	v_fma_f64 v[132:133], s[0:1], v[130:131], v[112:113]
	v_fmac_f64_e32 v[112:113], s[12:13], v[130:131]
	v_add_f64 v[130:131], v[114:115], v[166:167]
	v_fmac_f64_e32 v[114:115], -0.5, v[138:139]
	v_add_f64 v[136:137], v[134:135], -v[136:137]
	v_add_f64 v[138:139], v[172:173], v[174:175]
	v_mul_f64 v[124:125], v[146:147], v[106:107]
	s_waitcnt vmcnt(0)
	v_mul_f64 v[126:127], v[154:155], v[102:103]
	v_fmac_f64_e32 v[118:119], -0.5, v[158:159]
	v_fmac_f64_e32 v[176:177], v[146:147], v[104:105]
	v_fma_f64 v[134:135], s[12:13], v[136:137], v[114:115]
	v_fmac_f64_e32 v[114:115], s[0:1], v[136:137]
	v_add_f64 v[136:137], v[108:109], v[172:173]
	v_fmac_f64_e32 v[108:109], -0.5, v[138:139]
	v_add_f64 v[138:139], v[150:151], -v[156:157]
	v_add_f64 v[146:147], v[150:151], v[156:157]
	v_fmac_f64_e32 v[116:117], -0.5, v[160:161]
	v_fma_f64 v[158:159], v[144:145], v[104:105], -v[124:125]
	v_fma_f64 v[160:161], v[152:153], v[100:101], -v[126:127]
	v_fma_f64 v[126:127], s[12:13], v[148:149], v[118:119]
	v_fmac_f64_e32 v[118:119], s[0:1], v[148:149]
	v_fma_f64 v[144:145], s[0:1], v[138:139], v[108:109]
	v_fmac_f64_e32 v[108:109], s[12:13], v[138:139]
	v_add_f64 v[138:139], v[110:111], v[150:151]
	v_fmac_f64_e32 v[110:111], -0.5, v[146:147]
	v_add_f64 v[148:149], v[172:173], -v[174:175]
	v_mul_f64 v[178:179], v[152:153], v[102:103]
	v_fma_f64 v[146:147], s[12:13], v[148:149], v[110:111]
	v_fmac_f64_e32 v[110:111], s[0:1], v[148:149]
	v_add_f64 v[148:149], v[140:141], v[158:159]
	v_fmac_f64_e32 v[178:179], v[154:155], v[100:101]
	v_add_f64 v[172:173], v[148:149], v[160:161]
	v_add_f64 v[148:149], v[158:159], v[160:161]
	v_fmac_f64_e32 v[140:141], -0.5, v[148:149]
	v_add_f64 v[148:149], v[176:177], -v[178:179]
	v_fma_f64 v[152:153], s[0:1], v[148:149], v[140:141]
	v_fmac_f64_e32 v[140:141], s[12:13], v[148:149]
	v_add_f64 v[148:149], v[142:143], v[176:177]
	v_add_f64 v[136:137], v[136:137], v[174:175]
	;; [unrolled: 1-line block ×4, first 2 shown]
	v_fmac_f64_e32 v[142:143], -0.5, v[148:149]
	v_add_f64 v[148:149], v[158:159], -v[160:161]
	v_fma_f64 v[154:155], s[12:13], v[148:149], v[142:143]
	v_fmac_f64_e32 v[142:143], s[0:1], v[148:149]
	v_mul_u32_u24_e32 v148, 0x96, v180
	v_add_f64 v[122:123], v[168:169], v[162:163]
	v_fma_f64 v[124:125], s[0:1], v[164:165], v[116:117]
	v_fmac_f64_e32 v[116:117], s[12:13], v[164:165]
	s_movk_i32 s0, 0x96
	v_add_lshl_u32 v236, v148, v181, 4
	ds_write_b128 v236, v[120:123]
	ds_write_b128 v236, v[124:127] offset:800
	ds_write_b128 v236, v[116:119] offset:1600
	v_mad_legacy_u16 v116, v182, s0, v183
	v_add_f64 v[130:131], v[130:131], v[170:171]
	v_lshlrev_b32_e32 v237, 4, v116
	ds_write_b128 v237, v[128:131]
	ds_write_b128 v237, v[132:135] offset:800
	ds_write_b128 v237, v[112:115] offset:1600
	v_mad_legacy_u16 v112, v184, s0, v185
	v_add_f64 v[138:139], v[138:139], v[156:157]
	v_lshlrev_b32_e32 v238, 4, v112
	ds_write_b128 v238, v[136:139]
	ds_write_b128 v238, v[144:147] offset:800
	ds_write_b128 v238, v[108:111] offset:1600
	s_and_saveexec_b64 s[0:1], vcc
	s_cbranch_execz .LBB0_5
; %bb.4:
	ds_write_b128 v235, v[172:175] offset:19200
	ds_write_b128 v235, v[152:155] offset:20000
	;; [unrolled: 1-line block ×3, first 2 shown]
.LBB0_5:
	s_or_b64 exec, exec, s[0:1]
	s_waitcnt lgkmcnt(0)
	s_barrier
	ds_read_b128 v[156:159], v220
	ds_read_b128 v[148:151], v220 offset:2160
	ds_read_b128 v[180:183], v220 offset:14400
	;; [unrolled: 1-line block ×8, first 2 shown]
	s_and_saveexec_b64 s[0:1], vcc
	s_cbranch_execz .LBB0_7
; %bb.6:
	ds_read_b128 v[172:175], v220 offset:6480
	ds_read_b128 v[152:155], v220 offset:13680
	;; [unrolled: 1-line block ×3, first 2 shown]
.LBB0_7:
	s_or_b64 exec, exec, s[0:1]
	v_lshl_add_u64 v[116:117], v[222:223], 0, -15
	v_cmp_gt_u16_e64 s[0:1], 15, v222
	v_mul_u32_u24_e32 v124, 0xda75, v190
	v_lshlrev_b32_e32 v232, 5, v222
	v_cndmask_b32_e64 v189, v117, v227, s[0:1]
	v_cndmask_b32_e64 v188, v116, v226, s[0:1]
	v_lshlrev_b64 v[116:117], 5, v[188:189]
	v_mul_u32_u24_e32 v126, 0xda75, v191
	v_lshrrev_b32_e32 v189, 22, v124
	global_load_dwordx4 v[112:115], v232, s[10:11] offset:2320
	global_load_dwordx4 v[108:111], v232, s[10:11] offset:2336
	v_lshrrev_b32_e32 v124, 22, v126
	v_mul_lo_u16_e32 v126, 0x96, v189
	v_mov_b32_e32 v233, 0
	v_mul_lo_u16_e32 v128, 0x96, v124
	v_sub_u16_e32 v214, v228, v126
	v_lshl_add_u64 v[116:117], s[10:11], 0, v[116:117]
	v_mov_b32_e32 v125, v233
	v_lshlrev_b16_e32 v124, 5, v214
	v_sub_u16_e32 v215, v230, v128
	global_load_dwordx4 v[120:123], v[116:117], off offset:2320
	s_nop 0
	global_load_dwordx4 v[116:119], v[116:117], off offset:2336
	v_mov_b32_e32 v129, v233
	v_lshl_add_u64 v[130:131], s[10:11], 0, v[124:125]
	v_lshlrev_b16_e32 v128, 5, v215
	global_load_dwordx4 v[124:127], v[130:131], off offset:2336
	global_load_dwordx4 v[136:139], v[130:131], off offset:2320
	v_lshl_add_u64 v[128:129], s[10:11], 0, v[128:129]
	global_load_dwordx4 v[132:135], v[128:129], off offset:2320
	s_nop 0
	global_load_dwordx4 v[128:131], v[128:129], off offset:2336
	s_mov_b32 s0, 0xe8584caa
	s_mov_b32 s1, 0x3febb67a
	;; [unrolled: 1-line block ×3, first 2 shown]
	s_waitcnt lgkmcnt(0)
	s_barrier
	v_lshlrev_b32_e32 v239, 4, v215
	s_waitcnt vmcnt(7)
	v_mul_f64 v[190:191], v[186:187], v[114:115]
	s_waitcnt vmcnt(6)
	v_mul_f64 v[194:195], v[182:183], v[110:111]
	v_mul_f64 v[192:193], v[184:185], v[114:115]
	;; [unrolled: 1-line block ×3, first 2 shown]
	v_fma_f64 v[184:185], v[184:185], v[112:113], -v[190:191]
	v_fma_f64 v[180:181], v[180:181], v[108:109], -v[194:195]
	v_fmac_f64_e32 v[192:193], v[186:187], v[112:113]
	v_fmac_f64_e32 v[196:197], v[182:183], v[108:109]
	v_add_f64 v[186:187], v[184:185], v[180:181]
	v_add_f64 v[182:183], v[156:157], v[184:185]
	v_add_f64 v[190:191], v[192:193], -v[196:197]
	v_add_f64 v[194:195], v[158:159], v[192:193]
	s_waitcnt vmcnt(5)
	v_mul_f64 v[202:203], v[176:177], v[122:123]
	s_waitcnt vmcnt(4)
	v_mul_f64 v[204:205], v[170:171], v[118:119]
	v_mul_f64 v[206:207], v[168:169], v[118:119]
	v_fmac_f64_e32 v[156:157], -0.5, v[186:187]
	v_add_f64 v[192:193], v[192:193], v[196:197]
	v_add_f64 v[198:199], v[184:185], -v[180:181]
	v_mul_f64 v[200:201], v[178:179], v[122:123]
	v_add_f64 v[184:185], v[182:183], v[180:181]
	v_add_f64 v[186:187], v[194:195], v[196:197]
	v_fmac_f64_e32 v[202:203], v[178:179], v[120:121]
	v_fma_f64 v[178:179], v[168:169], v[116:117], -v[204:205]
	v_fmac_f64_e32 v[206:207], v[170:171], v[116:117]
	v_fma_f64 v[168:169], s[0:1], v[190:191], v[156:157]
	v_fmac_f64_e32 v[156:157], s[12:13], v[190:191]
	s_waitcnt vmcnt(2)
	v_mul_f64 v[180:181], v[166:167], v[138:139]
	v_mul_f64 v[182:183], v[164:165], v[138:139]
	;; [unrolled: 1-line block ×3, first 2 shown]
	s_waitcnt vmcnt(1)
	v_mul_f64 v[196:197], v[152:153], v[134:135]
	v_fmac_f64_e32 v[158:159], -0.5, v[192:193]
	v_fma_f64 v[176:177], v[176:177], v[120:121], -v[200:201]
	v_mul_f64 v[192:193], v[160:161], v[126:127]
	v_mul_f64 v[194:195], v[154:155], v[134:135]
	v_fma_f64 v[180:181], v[164:165], v[136:137], -v[180:181]
	v_fmac_f64_e32 v[182:183], v[166:167], v[136:137]
	v_fma_f64 v[166:167], v[160:161], v[124:125], -v[190:191]
	v_fmac_f64_e32 v[196:197], v[154:155], v[132:133]
	v_add_f64 v[154:155], v[202:203], v[206:207]
	v_add_f64 v[212:213], v[150:151], v[202:203]
	v_fmac_f64_e32 v[192:193], v[162:163], v[124:125]
	v_fmac_f64_e32 v[150:151], -0.5, v[154:155]
	v_add_f64 v[160:161], v[176:177], -v[178:179]
	v_add_f64 v[162:163], v[180:181], v[166:167]
	v_add_f64 v[204:205], v[148:149], v[176:177]
	;; [unrolled: 1-line block ×3, first 2 shown]
	v_fma_f64 v[154:155], s[12:13], v[160:161], v[150:151]
	v_fmac_f64_e32 v[150:151], s[0:1], v[160:161]
	v_add_f64 v[160:161], v[144:145], v[180:181]
	v_fmac_f64_e32 v[144:145], -0.5, v[162:163]
	v_add_f64 v[162:163], v[182:183], -v[192:193]
	v_add_f64 v[176:177], v[182:183], v[192:193]
	v_fma_f64 v[170:171], s[12:13], v[198:199], v[158:159]
	v_fmac_f64_e32 v[158:159], s[0:1], v[198:199]
	s_waitcnt vmcnt(0)
	v_mul_f64 v[198:199], v[142:143], v[130:131]
	v_fma_f64 v[190:191], v[152:153], v[132:133], -v[194:195]
	v_fma_f64 v[164:165], s[0:1], v[162:163], v[144:145]
	v_fmac_f64_e32 v[144:145], s[12:13], v[162:163]
	v_add_f64 v[162:163], v[146:147], v[182:183]
	v_fmac_f64_e32 v[146:147], -0.5, v[176:177]
	v_add_f64 v[176:177], v[180:181], -v[166:167]
	v_mul_f64 v[200:201], v[140:141], v[130:131]
	v_fma_f64 v[194:195], v[140:141], v[128:129], -v[198:199]
	v_add_f64 v[160:161], v[160:161], v[166:167]
	v_fma_f64 v[166:167], s[12:13], v[176:177], v[146:147]
	v_fmac_f64_e32 v[146:147], s[0:1], v[176:177]
	v_add_f64 v[176:177], v[172:173], v[190:191]
	v_fmac_f64_e32 v[200:201], v[142:143], v[128:129]
	v_add_f64 v[180:181], v[176:177], v[194:195]
	v_add_f64 v[176:177], v[190:191], v[194:195]
	;; [unrolled: 1-line block ×3, first 2 shown]
	v_fmac_f64_e32 v[172:173], -0.5, v[176:177]
	v_add_f64 v[178:179], v[196:197], -v[200:201]
	v_fma_f64 v[176:177], s[0:1], v[178:179], v[172:173]
	v_fmac_f64_e32 v[172:173], s[12:13], v[178:179]
	v_add_f64 v[178:179], v[174:175], v[196:197]
	v_add_f64 v[182:183], v[178:179], v[200:201]
	;; [unrolled: 1-line block ×3, first 2 shown]
	v_add_f64 v[210:211], v[202:203], -v[206:207]
	v_fmac_f64_e32 v[148:149], -0.5, v[208:209]
	v_fmac_f64_e32 v[174:175], -0.5, v[178:179]
	v_add_f64 v[190:191], v[190:191], -v[194:195]
	v_fma_f64 v[152:153], s[0:1], v[210:211], v[148:149]
	v_fma_f64 v[178:179], s[12:13], v[190:191], v[174:175]
	v_fmac_f64_e32 v[174:175], s[0:1], v[190:191]
	ds_write_b128 v220, v[184:187]
	ds_write_b128 v220, v[168:171] offset:2400
	ds_write_b128 v220, v[156:159] offset:4800
	v_mov_b32_e32 v156, 0x1c2
	v_cmp_lt_u16_e64 s[0:1], 14, v222
	v_add_f64 v[142:143], v[212:213], v[206:207]
	v_fmac_f64_e32 v[148:149], s[12:13], v[210:211]
	v_cndmask_b32_e64 v156, 0, v156, s[0:1]
	s_movk_i32 s12, 0x1c2
	v_add_lshl_u32 v240, v188, v156, 4
	ds_write_b128 v240, v[140:143]
	ds_write_b128 v240, v[152:155] offset:2400
	ds_write_b128 v240, v[148:151] offset:4800
	v_mad_legacy_u16 v140, v189, s12, v214
	v_add_f64 v[162:163], v[162:163], v[192:193]
	v_lshlrev_b32_e32 v241, 4, v140
	ds_write_b128 v241, v[160:163]
	ds_write_b128 v241, v[164:167] offset:2400
	ds_write_b128 v241, v[144:147] offset:4800
	s_and_saveexec_b64 s[0:1], vcc
	s_cbranch_execz .LBB0_9
; %bb.8:
	ds_write_b128 v239, v[180:183] offset:14400
	ds_write_b128 v239, v[176:179] offset:16800
	;; [unrolled: 1-line block ×3, first 2 shown]
.LBB0_9:
	s_or_b64 exec, exec, s[0:1]
	s_waitcnt lgkmcnt(0)
	s_barrier
	ds_read_b128 v[192:195], v220
	ds_read_b128 v[188:191], v220 offset:2160
	ds_read_b128 v[212:215], v220 offset:14400
	;; [unrolled: 1-line block ×8, first 2 shown]
	v_lshl_add_u64 v[140:141], s[10:11], 0, v[232:233]
	s_and_saveexec_b64 s[0:1], vcc
	s_cbranch_execz .LBB0_11
; %bb.10:
	ds_read_b128 v[180:183], v220 offset:6480
	ds_read_b128 v[176:179], v220 offset:13680
	;; [unrolled: 1-line block ×3, first 2 shown]
.LBB0_11:
	s_or_b64 exec, exec, s[0:1]
	s_mov_b64 s[12:13], 0x1bd0
	s_movk_i32 s14, 0x1000
	v_lshl_add_u64 v[142:143], v[140:141], 0, s[12:13]
	v_add_co_u32_e64 v140, s[0:1], s14, v140
	v_lshlrev_b32_e32 v226, 5, v226
	s_nop 0
	v_addc_co_u32_e64 v141, s[0:1], 0, v141, s[0:1]
	v_mov_b32_e32 v227, 0
	global_load_dwordx4 v[148:151], v[140:141], off offset:3024
	global_load_dwordx4 v[152:155], v[142:143], off offset:16
	v_lshl_add_u64 v[140:141], s[10:11], 0, v[226:227]
	v_lshl_add_u64 v[142:143], v[140:141], 0, s[12:13]
	v_add_co_u32_e64 v140, s[0:1], s14, v140
	s_waitcnt vmcnt(0) lgkmcnt(6)
	v_mul_f64 v[232:233], v[214:215], v[154:155]
	v_addc_co_u32_e64 v141, s[0:1], 0, v141, s[0:1]
	global_load_dwordx4 v[156:159], v[140:141], off offset:3024
	global_load_dwordx4 v[160:163], v[142:143], off offset:16
	v_lshlrev_b64 v[140:141], 5, v[228:229]
	v_lshl_add_u64 v[140:141], s[10:11], 0, v[140:141]
	v_add_co_u32_e64 v142, s[0:1], s14, v140
	s_waitcnt lgkmcnt(4)
	v_mul_f64 v[228:229], v[218:219], v[150:151]
	v_addc_co_u32_e64 v143, s[0:1], 0, v141, s[0:1]
	s_movk_i32 s0, 0xffd3
	v_lshl_add_u64 v[140:141], v[140:141], 0, s[12:13]
	s_mov_b32 s1, -1
	global_load_dwordx4 v[164:167], v[142:143], off offset:3024
	global_load_dwordx4 v[168:171], v[140:141], off offset:16
	v_lshl_add_u64 v[140:141], v[222:223], 0, s[0:1]
	v_cndmask_b32_e32 v141, v141, v231, vcc
	v_cndmask_b32_e32 v140, v140, v230, vcc
	v_lshlrev_b64 v[140:141], 5, v[140:141]
	v_lshl_add_u64 v[144:145], s[10:11], 0, v[140:141]
	v_add_co_u32_e64 v140, s[0:1], s14, v144
	v_mul_f64 v[230:231], v[216:217], v[150:151]
	s_nop 0
	v_addc_co_u32_e64 v141, s[0:1], 0, v145, s[0:1]
	v_lshl_add_u64 v[144:145], v[144:145], 0, s[12:13]
	global_load_dwordx4 v[140:143], v[140:141], off offset:3024
	v_mul_f64 v[242:243], v[212:213], v[154:155]
	global_load_dwordx4 v[144:147], v[144:145], off offset:16
	v_fma_f64 v[216:217], v[216:217], v[148:149], -v[228:229]
	v_fma_f64 v[212:213], v[212:213], v[152:153], -v[232:233]
	s_mov_b32 s0, 0xe8584caa
	v_fmac_f64_e32 v[230:231], v[218:219], v[148:149]
	v_fmac_f64_e32 v[242:243], v[214:215], v[152:153]
	s_mov_b32 s1, 0x3febb67a
	s_mov_b32 s11, 0xbfebb67a
	;; [unrolled: 1-line block ×3, first 2 shown]
	s_waitcnt vmcnt(5) lgkmcnt(2)
	v_mul_f64 v[218:219], v[208:209], v[158:159]
	s_waitcnt vmcnt(4)
	v_mul_f64 v[232:233], v[196:197], v[162:163]
	v_mul_f64 v[228:229], v[198:199], v[162:163]
	v_fmac_f64_e32 v[232:233], v[198:199], v[160:161]
	v_add_f64 v[198:199], v[216:217], v[212:213]
	v_mul_f64 v[214:215], v[210:211], v[158:159]
	v_fmac_f64_e32 v[218:219], v[210:211], v[156:157]
	v_fma_f64 v[228:229], v[196:197], v[160:161], -v[228:229]
	v_add_f64 v[196:197], v[192:193], v[216:217]
	v_fmac_f64_e32 v[192:193], -0.5, v[198:199]
	v_fma_f64 v[252:253], v[208:209], v[156:157], -v[214:215]
	s_waitcnt vmcnt(3) lgkmcnt(1)
	v_mul_f64 v[246:247], v[204:205], v[166:167]
	s_waitcnt vmcnt(2) lgkmcnt(0)
	v_mul_f64 v[248:249], v[202:203], v[170:171]
	v_mul_f64 v[250:251], v[200:201], v[170:171]
	v_fma_f64 v[248:249], v[200:201], v[168:169], -v[248:249]
	v_fmac_f64_e32 v[250:251], v[202:203], v[168:169]
	v_add_f64 v[202:203], v[230:231], -v[242:243]
	v_add_f64 v[200:201], v[194:195], v[230:231]
	v_mul_f64 v[244:245], v[206:207], v[166:167]
	v_fmac_f64_e32 v[246:247], v[206:207], v[164:165]
	v_add_f64 v[206:207], v[200:201], v[242:243]
	v_fma_f64 v[208:209], s[0:1], v[202:203], v[192:193]
	v_fmac_f64_e32 v[192:193], s[10:11], v[202:203]
	v_fma_f64 v[244:245], v[204:205], v[164:165], -v[244:245]
	v_add_f64 v[204:205], v[196:197], v[212:213]
	s_waitcnt vmcnt(1)
	v_mul_f64 v[198:199], v[178:179], v[142:143]
	s_waitcnt vmcnt(0)
	v_mul_f64 v[210:211], v[174:175], v[146:147]
	v_mul_f64 v[200:201], v[172:173], v[146:147]
	v_fma_f64 v[202:203], v[172:173], v[144:145], -v[210:211]
	v_add_f64 v[172:173], v[230:231], v[242:243]
	v_fmac_f64_e32 v[194:195], -0.5, v[172:173]
	v_add_f64 v[172:173], v[216:217], -v[212:213]
	v_fma_f64 v[210:211], s[10:11], v[172:173], v[194:195]
	v_fmac_f64_e32 v[194:195], s[0:1], v[172:173]
	v_add_f64 v[172:173], v[188:189], v[252:253]
	v_add_f64 v[212:213], v[172:173], v[228:229]
	v_add_f64 v[172:173], v[252:253], v[228:229]
	v_fmac_f64_e32 v[188:189], -0.5, v[172:173]
	v_add_f64 v[172:173], v[218:219], -v[232:233]
	v_fma_f64 v[216:217], s[0:1], v[172:173], v[188:189]
	v_fmac_f64_e32 v[188:189], s[10:11], v[172:173]
	v_add_f64 v[172:173], v[190:191], v[218:219]
	v_add_f64 v[214:215], v[172:173], v[232:233]
	;; [unrolled: 7-line block ×4, first 2 shown]
	v_add_f64 v[172:173], v[246:247], v[250:251]
	v_mul_f64 v[196:197], v[176:177], v[142:143]
	v_fma_f64 v[198:199], v[176:177], v[140:141], -v[198:199]
	v_fmac_f64_e32 v[186:187], -0.5, v[172:173]
	v_add_f64 v[172:173], v[244:245], -v[248:249]
	v_fmac_f64_e32 v[196:197], v[178:179], v[140:141]
	v_fmac_f64_e32 v[200:201], v[174:175], v[144:145]
	v_fma_f64 v[244:245], s[10:11], v[172:173], v[186:187]
	v_fmac_f64_e32 v[186:187], s[0:1], v[172:173]
	v_add_f64 v[172:173], v[198:199], v[202:203]
	v_fma_f64 v[176:177], -0.5, v[172:173], v[180:181]
	v_add_f64 v[174:175], v[196:197], -v[200:201]
	v_fma_f64 v[172:173], s[0:1], v[174:175], v[176:177]
	v_fmac_f64_e32 v[176:177], s[10:11], v[174:175]
	v_add_f64 v[174:175], v[196:197], v[200:201]
	v_fma_f64 v[178:179], -0.5, v[174:175], v[182:183]
	v_add_f64 v[232:233], v[198:199], -v[202:203]
	v_fma_f64 v[174:175], s[10:11], v[232:233], v[178:179]
	v_fmac_f64_e32 v[178:179], s[0:1], v[232:233]
	ds_write_b128 v220, v[204:207]
	ds_write_b128 v220, v[208:211] offset:7200
	ds_write_b128 v220, v[192:195] offset:14400
	;; [unrolled: 1-line block ×8, first 2 shown]
	s_and_saveexec_b64 s[0:1], vcc
	s_cbranch_execz .LBB0_13
; %bb.12:
	v_add_f64 v[182:183], v[182:183], v[196:197]
	v_add_f64 v[180:181], v[180:181], v[198:199]
	;; [unrolled: 1-line block ×4, first 2 shown]
	ds_write_b128 v220, v[180:183] offset:6480
	ds_write_b128 v220, v[172:175] offset:13680
	;; [unrolled: 1-line block ×3, first 2 shown]
.LBB0_13:
	s_or_b64 exec, exec, s[0:1]
	v_lshlrev_b32_e32 v226, 4, v222
	v_lshl_add_u64 v[184:185], s[8:9], 0, v[226:227]
	s_mov_b64 s[0:1], 0x5460
	v_lshl_add_u64 v[180:181], v[184:185], 0, s[0:1]
	s_movk_i32 s0, 0x5000
	v_add_co_u32_e64 v182, s[0:1], s0, v184
	s_waitcnt lgkmcnt(0)
	s_nop 0
	v_addc_co_u32_e64 v183, s[0:1], 0, v185, s[0:1]
	s_barrier
	global_load_dwordx4 v[190:193], v[182:183], off offset:1120
	ds_read_b128 v[186:189], v220
	s_movk_i32 s0, 0x6000
	s_mov_b32 s14, 0x134454ff
	s_mov_b32 s15, 0xbfee6f0e
	;; [unrolled: 1-line block ×10, first 2 shown]
	s_waitcnt vmcnt(0) lgkmcnt(0)
	v_mul_f64 v[182:183], v[188:189], v[192:193]
	v_fma_f64 v[194:195], v[186:187], v[190:191], -v[182:183]
	v_add_co_u32_e64 v182, s[0:1], s0, v184
	v_mul_f64 v[196:197], v[186:187], v[192:193]
	s_nop 0
	v_addc_co_u32_e64 v183, s[0:1], 0, v185, s[0:1]
	v_fmac_f64_e32 v[196:197], v[188:189], v[190:191]
	global_load_dwordx4 v[190:193], v[182:183], off offset:1344
	ds_read_b128 v[186:189], v220 offset:4320
	ds_write_b128 v220, v[194:197]
	s_movk_i32 s0, 0x7000
	s_waitcnt vmcnt(0) lgkmcnt(1)
	v_mul_f64 v[194:195], v[188:189], v[192:193]
	v_fma_f64 v[194:195], v[186:187], v[190:191], -v[194:195]
	v_mul_f64 v[196:197], v[186:187], v[192:193]
	v_add_co_u32_e64 v186, s[0:1], s0, v184
	v_fmac_f64_e32 v[196:197], v[188:189], v[190:191]
	s_nop 0
	v_addc_co_u32_e64 v187, s[0:1], 0, v185, s[0:1]
	ds_write_b128 v220, v[194:197] offset:4320
	global_load_dwordx4 v[192:195], v[186:187], off offset:1568
	ds_read_b128 v[188:191], v220 offset:8640
	s_mov_b32 s0, 0x8000
	v_add_co_u32_e64 v200, s[0:1], s0, v184
	s_waitcnt vmcnt(0) lgkmcnt(0)
	v_mul_f64 v[196:197], v[190:191], v[194:195]
	v_mul_f64 v[198:199], v[188:189], v[194:195]
	v_addc_co_u32_e64 v201, s[0:1], 0, v185, s[0:1]
	v_fma_f64 v[196:197], v[188:189], v[192:193], -v[196:197]
	v_fmac_f64_e32 v[198:199], v[190:191], v[192:193]
	global_load_dwordx4 v[192:195], v[200:201], off offset:1792
	ds_read_b128 v[188:191], v220 offset:12960
	ds_write_b128 v220, v[196:199] offset:8640
	s_mov_b32 s0, 0x9000
	s_waitcnt vmcnt(0) lgkmcnt(1)
	v_mul_f64 v[196:197], v[190:191], v[194:195]
	v_mul_f64 v[198:199], v[188:189], v[194:195]
	v_fma_f64 v[196:197], v[188:189], v[192:193], -v[196:197]
	v_fmac_f64_e32 v[198:199], v[190:191], v[192:193]
	v_add_co_u32_e64 v192, s[0:1], s0, v184
	ds_read_b128 v[188:191], v220 offset:17280
	s_nop 0
	v_addc_co_u32_e64 v193, s[0:1], 0, v185, s[0:1]
	global_load_dwordx4 v[192:195], v[192:193], off offset:2016
	ds_write_b128 v220, v[196:199] offset:12960
	s_mov_b32 s0, 0xa000
	v_add_co_u32_e64 v184, s[0:1], s0, v184
	s_waitcnt vmcnt(0) lgkmcnt(1)
	v_mul_f64 v[196:197], v[190:191], v[194:195]
	v_mul_f64 v[198:199], v[188:189], v[194:195]
	v_fma_f64 v[196:197], v[188:189], v[192:193], -v[196:197]
	v_fmac_f64_e32 v[198:199], v[190:191], v[192:193]
	global_load_dwordx4 v[192:195], v[180:181], off offset:2160
	ds_read_b128 v[188:191], v220 offset:2160
	ds_write_b128 v220, v[196:199] offset:17280
	v_addc_co_u32_e64 v185, s[0:1], 0, v185, s[0:1]
	s_mov_b32 s0, 0x372fe950
	s_mov_b32 s1, 0x3fd3c6ef
	s_waitcnt vmcnt(0) lgkmcnt(1)
	v_mul_f64 v[180:181], v[190:191], v[194:195]
	v_fma_f64 v[196:197], v[188:189], v[192:193], -v[180:181]
	global_load_dwordx4 v[180:183], v[182:183], off offset:3504
	v_mul_f64 v[198:199], v[188:189], v[194:195]
	v_fmac_f64_e32 v[198:199], v[190:191], v[192:193]
	ds_read_b128 v[188:191], v220 offset:6480
	ds_write_b128 v220, v[196:199] offset:2160
	s_waitcnt vmcnt(0) lgkmcnt(1)
	v_mul_f64 v[192:193], v[190:191], v[182:183]
	v_fma_f64 v[192:193], v[188:189], v[180:181], -v[192:193]
	v_mul_f64 v[194:195], v[188:189], v[182:183]
	global_load_dwordx4 v[186:189], v[186:187], off offset:3728
	v_fmac_f64_e32 v[194:195], v[190:191], v[180:181]
	ds_read_b128 v[180:183], v220 offset:10800
	ds_write_b128 v220, v[192:195] offset:6480
	s_waitcnt vmcnt(0) lgkmcnt(1)
	v_mul_f64 v[190:191], v[182:183], v[188:189]
	v_mul_f64 v[192:193], v[180:181], v[188:189]
	v_fma_f64 v[190:191], v[180:181], v[186:187], -v[190:191]
	v_fmac_f64_e32 v[192:193], v[182:183], v[186:187]
	global_load_dwordx4 v[186:189], v[200:201], off offset:3952
	ds_read_b128 v[180:183], v220 offset:15120
	ds_write_b128 v220, v[190:193] offset:10800
	s_waitcnt vmcnt(0) lgkmcnt(1)
	v_mul_f64 v[190:191], v[182:183], v[188:189]
	v_mul_f64 v[192:193], v[180:181], v[188:189]
	v_fma_f64 v[190:191], v[180:181], v[186:187], -v[190:191]
	v_fmac_f64_e32 v[192:193], v[182:183], v[186:187]
	global_load_dwordx4 v[184:187], v[184:185], off offset:80
	ds_read_b128 v[180:183], v220 offset:19440
	ds_write_b128 v220, v[190:193] offset:15120
	s_waitcnt vmcnt(0) lgkmcnt(1)
	v_mul_f64 v[188:189], v[182:183], v[186:187]
	v_mul_f64 v[190:191], v[180:181], v[186:187]
	v_fma_f64 v[188:189], v[180:181], v[184:185], -v[188:189]
	v_fmac_f64_e32 v[190:191], v[182:183], v[184:185]
	ds_write_b128 v220, v[188:191] offset:19440
	s_waitcnt lgkmcnt(0)
	s_barrier
	ds_read_b128 v[180:183], v220
	ds_read_b128 v[188:191], v220 offset:4320
	ds_read_b128 v[192:195], v220 offset:8640
	ds_read_b128 v[196:199], v220 offset:12960
	ds_read_b128 v[200:203], v220 offset:17280
	ds_read_b128 v[184:187], v220 offset:2160
	ds_read_b128 v[204:207], v220 offset:6480
	ds_read_b128 v[208:211], v220 offset:10800
	ds_read_b128 v[212:215], v220 offset:15120
	ds_read_b128 v[216:219], v220 offset:19440
	s_waitcnt lgkmcnt(6)
	v_add_f64 v[228:229], v[192:193], v[196:197]
	v_fma_f64 v[230:231], -0.5, v[228:229], v[180:181]
	s_waitcnt lgkmcnt(5)
	v_add_f64 v[228:229], v[190:191], -v[202:203]
	v_fma_f64 v[242:243], s[14:15], v[228:229], v[230:231]
	v_add_f64 v[232:233], v[194:195], -v[198:199]
	v_add_f64 v[244:245], v[188:189], -v[192:193]
	;; [unrolled: 1-line block ×3, first 2 shown]
	v_fmac_f64_e32 v[230:231], s[10:11], v[228:229]
	v_fmac_f64_e32 v[242:243], s[12:13], v[232:233]
	v_add_f64 v[244:245], v[244:245], v[246:247]
	v_fmac_f64_e32 v[230:231], s[8:9], v[232:233]
	v_fmac_f64_e32 v[242:243], s[0:1], v[244:245]
	v_fmac_f64_e32 v[230:231], s[0:1], v[244:245]
	v_add_f64 v[244:245], v[188:189], v[200:201]
	v_add_f64 v[226:227], v[180:181], v[188:189]
	v_fmac_f64_e32 v[180:181], -0.5, v[244:245]
	v_add_f64 v[226:227], v[226:227], v[192:193]
	v_fma_f64 v[246:247], s[10:11], v[232:233], v[180:181]
	v_add_f64 v[244:245], v[192:193], -v[188:189]
	v_add_f64 v[248:249], v[196:197], -v[200:201]
	v_fmac_f64_e32 v[180:181], s[14:15], v[232:233]
	v_add_f64 v[232:233], v[194:195], v[198:199]
	v_add_f64 v[226:227], v[226:227], v[196:197]
	v_fmac_f64_e32 v[246:247], s[12:13], v[228:229]
	v_add_f64 v[244:245], v[244:245], v[248:249]
	v_fmac_f64_e32 v[180:181], s[8:9], v[228:229]
	v_fma_f64 v[232:233], -0.5, v[232:233], v[182:183]
	v_add_f64 v[188:189], v[188:189], -v[200:201]
	v_add_f64 v[226:227], v[226:227], v[200:201]
	v_fmac_f64_e32 v[246:247], s[0:1], v[244:245]
	v_fmac_f64_e32 v[180:181], s[0:1], v[244:245]
	v_fma_f64 v[244:245], s[10:11], v[188:189], v[232:233]
	v_add_f64 v[192:193], v[192:193], -v[196:197]
	v_add_f64 v[196:197], v[190:191], -v[194:195]
	v_add_f64 v[200:201], v[202:203], -v[198:199]
	v_fmac_f64_e32 v[232:233], s[14:15], v[188:189]
	v_fmac_f64_e32 v[244:245], s[8:9], v[192:193]
	v_add_f64 v[196:197], v[196:197], v[200:201]
	v_fmac_f64_e32 v[232:233], s[12:13], v[192:193]
	v_fmac_f64_e32 v[244:245], s[0:1], v[196:197]
	;; [unrolled: 1-line block ×3, first 2 shown]
	v_add_f64 v[196:197], v[190:191], v[202:203]
	v_add_f64 v[228:229], v[182:183], v[190:191]
	v_fmac_f64_e32 v[182:183], -0.5, v[196:197]
	v_add_f64 v[228:229], v[228:229], v[194:195]
	v_fma_f64 v[248:249], s[14:15], v[192:193], v[182:183]
	v_add_f64 v[190:191], v[194:195], -v[190:191]
	v_add_f64 v[194:195], v[198:199], -v[202:203]
	v_fmac_f64_e32 v[182:183], s[10:11], v[192:193]
	v_fmac_f64_e32 v[248:249], s[8:9], v[188:189]
	v_add_f64 v[190:191], v[190:191], v[194:195]
	v_fmac_f64_e32 v[182:183], s[12:13], v[188:189]
	v_fmac_f64_e32 v[248:249], s[0:1], v[190:191]
	;; [unrolled: 1-line block ×3, first 2 shown]
	s_waitcnt lgkmcnt(1)
	v_add_f64 v[190:191], v[208:209], v[212:213]
	v_fma_f64 v[192:193], -0.5, v[190:191], v[184:185]
	s_waitcnt lgkmcnt(0)
	v_add_f64 v[190:191], v[206:207], -v[218:219]
	v_add_f64 v[228:229], v[228:229], v[198:199]
	v_fma_f64 v[196:197], s[14:15], v[190:191], v[192:193]
	v_add_f64 v[194:195], v[210:211], -v[214:215]
	v_add_f64 v[198:199], v[204:205], -v[208:209]
	;; [unrolled: 1-line block ×3, first 2 shown]
	v_fmac_f64_e32 v[192:193], s[10:11], v[190:191]
	v_fmac_f64_e32 v[196:197], s[12:13], v[194:195]
	v_add_f64 v[198:199], v[198:199], v[200:201]
	v_fmac_f64_e32 v[192:193], s[8:9], v[194:195]
	v_fmac_f64_e32 v[196:197], s[0:1], v[198:199]
	;; [unrolled: 1-line block ×3, first 2 shown]
	v_add_f64 v[198:199], v[204:205], v[216:217]
	v_add_f64 v[188:189], v[184:185], v[204:205]
	v_fmac_f64_e32 v[184:185], -0.5, v[198:199]
	v_add_f64 v[228:229], v[228:229], v[202:203]
	v_fma_f64 v[200:201], s[10:11], v[194:195], v[184:185]
	v_add_f64 v[198:199], v[208:209], -v[204:205]
	v_add_f64 v[202:203], v[212:213], -v[216:217]
	v_fmac_f64_e32 v[184:185], s[14:15], v[194:195]
	v_add_f64 v[194:195], v[210:211], v[214:215]
	v_add_f64 v[188:189], v[188:189], v[208:209]
	v_fmac_f64_e32 v[200:201], s[12:13], v[190:191]
	v_add_f64 v[198:199], v[198:199], v[202:203]
	v_fmac_f64_e32 v[184:185], s[8:9], v[190:191]
	v_fma_f64 v[194:195], -0.5, v[194:195], v[186:187]
	v_add_f64 v[204:205], v[204:205], -v[216:217]
	v_add_f64 v[188:189], v[188:189], v[212:213]
	v_fmac_f64_e32 v[200:201], s[0:1], v[198:199]
	v_fmac_f64_e32 v[184:185], s[0:1], v[198:199]
	v_fma_f64 v[198:199], s[10:11], v[204:205], v[194:195]
	v_add_f64 v[208:209], v[208:209], -v[212:213]
	v_add_f64 v[202:203], v[206:207], -v[210:211]
	;; [unrolled: 1-line block ×3, first 2 shown]
	v_fmac_f64_e32 v[194:195], s[14:15], v[204:205]
	v_fmac_f64_e32 v[198:199], s[8:9], v[208:209]
	v_add_f64 v[202:203], v[202:203], v[212:213]
	v_fmac_f64_e32 v[194:195], s[12:13], v[208:209]
	v_fmac_f64_e32 v[198:199], s[0:1], v[202:203]
	;; [unrolled: 1-line block ×3, first 2 shown]
	v_add_f64 v[202:203], v[206:207], v[218:219]
	v_add_f64 v[190:191], v[186:187], v[206:207]
	v_fmac_f64_e32 v[186:187], -0.5, v[202:203]
	v_add_f64 v[190:191], v[190:191], v[210:211]
	v_fma_f64 v[202:203], s[14:15], v[208:209], v[186:187]
	v_add_f64 v[206:207], v[210:211], -v[206:207]
	v_add_f64 v[210:211], v[214:215], -v[218:219]
	v_fmac_f64_e32 v[186:187], s[10:11], v[208:209]
	v_add_f64 v[190:191], v[190:191], v[214:215]
	v_fmac_f64_e32 v[202:203], s[8:9], v[204:205]
	v_add_f64 v[206:207], v[206:207], v[210:211]
	v_fmac_f64_e32 v[186:187], s[12:13], v[204:205]
	v_add_f64 v[188:189], v[188:189], v[216:217]
	v_add_f64 v[190:191], v[190:191], v[218:219]
	v_fmac_f64_e32 v[202:203], s[0:1], v[206:207]
	v_fmac_f64_e32 v[186:187], s[0:1], v[206:207]
	s_barrier
	ds_write_b128 v221, v[226:229]
	ds_write_b128 v221, v[242:245] offset:16
	ds_write_b128 v221, v[246:249] offset:32
	;; [unrolled: 1-line block ×4, first 2 shown]
	ds_write_b128 v225, v[188:191]
	ds_write_b128 v225, v[196:199] offset:16
	ds_write_b128 v225, v[200:203] offset:32
	;; [unrolled: 1-line block ×4, first 2 shown]
	s_waitcnt lgkmcnt(0)
	s_barrier
	ds_read_b128 v[180:183], v220
	ds_read_b128 v[184:187], v220 offset:2160
	ds_read_b128 v[188:191], v220 offset:4320
	;; [unrolled: 1-line block ×9, first 2 shown]
	s_waitcnt lgkmcnt(8)
	v_mul_f64 v[226:227], v[54:55], v[186:187]
	v_mul_f64 v[54:55], v[54:55], v[184:185]
	v_fmac_f64_e32 v[226:227], v[52:53], v[184:185]
	v_fma_f64 v[184:185], v[52:53], v[186:187], -v[54:55]
	s_waitcnt lgkmcnt(7)
	v_mul_f64 v[52:53], v[50:51], v[190:191]
	v_mul_f64 v[50:51], v[50:51], v[188:189]
	v_fmac_f64_e32 v[52:53], v[48:49], v[188:189]
	v_fma_f64 v[48:49], v[48:49], v[190:191], -v[50:51]
	;; [unrolled: 5-line block ×8, first 2 shown]
	s_waitcnt lgkmcnt(0)
	v_mul_f64 v[58:59], v[74:75], v[218:219]
	v_mul_f64 v[70:71], v[74:75], v[216:217]
	v_add_f64 v[74:75], v[46:47], v[68:69]
	v_fma_f64 v[74:75], -0.5, v[74:75], v[180:181]
	v_add_f64 v[186:187], v[48:49], -v[56:57]
	v_fma_f64 v[188:189], s[14:15], v[186:187], v[74:75]
	v_add_f64 v[190:191], v[40:41], -v[64:65]
	v_add_f64 v[192:193], v[52:53], -v[46:47]
	;; [unrolled: 1-line block ×3, first 2 shown]
	v_fmac_f64_e32 v[74:75], s[10:11], v[186:187]
	v_fmac_f64_e32 v[188:189], s[12:13], v[190:191]
	v_add_f64 v[192:193], v[192:193], v[194:195]
	v_fmac_f64_e32 v[74:75], s[8:9], v[190:191]
	v_fmac_f64_e32 v[188:189], s[0:1], v[192:193]
	v_fmac_f64_e32 v[74:75], s[0:1], v[192:193]
	v_add_f64 v[192:193], v[52:53], v[62:63]
	v_fmac_f64_e32 v[58:59], v[72:73], v[216:217]
	v_fma_f64 v[70:71], v[72:73], v[218:219], -v[70:71]
	v_add_f64 v[72:73], v[180:181], v[52:53]
	v_fmac_f64_e32 v[180:181], -0.5, v[192:193]
	v_add_f64 v[72:73], v[72:73], v[46:47]
	v_fma_f64 v[192:193], s[10:11], v[190:191], v[180:181]
	v_add_f64 v[194:195], v[46:47], -v[52:53]
	v_add_f64 v[196:197], v[68:69], -v[62:63]
	v_fmac_f64_e32 v[180:181], s[14:15], v[190:191]
	v_add_f64 v[190:191], v[40:41], v[64:65]
	v_add_f64 v[72:73], v[72:73], v[68:69]
	v_fmac_f64_e32 v[192:193], s[12:13], v[186:187]
	v_add_f64 v[194:195], v[194:195], v[196:197]
	v_fmac_f64_e32 v[180:181], s[8:9], v[186:187]
	v_fma_f64 v[190:191], -0.5, v[190:191], v[182:183]
	v_add_f64 v[52:53], v[52:53], -v[62:63]
	v_add_f64 v[72:73], v[72:73], v[62:63]
	v_fmac_f64_e32 v[192:193], s[0:1], v[194:195]
	v_fmac_f64_e32 v[180:181], s[0:1], v[194:195]
	v_fma_f64 v[194:195], s[10:11], v[52:53], v[190:191]
	v_add_f64 v[46:47], v[46:47], -v[68:69]
	v_add_f64 v[62:63], v[48:49], -v[40:41]
	;; [unrolled: 1-line block ×3, first 2 shown]
	v_fmac_f64_e32 v[190:191], s[14:15], v[52:53]
	v_fmac_f64_e32 v[194:195], s[8:9], v[46:47]
	v_add_f64 v[62:63], v[62:63], v[68:69]
	v_fmac_f64_e32 v[190:191], s[12:13], v[46:47]
	v_fmac_f64_e32 v[194:195], s[0:1], v[62:63]
	;; [unrolled: 1-line block ×3, first 2 shown]
	v_add_f64 v[62:63], v[48:49], v[56:57]
	v_add_f64 v[186:187], v[182:183], v[48:49]
	v_fmac_f64_e32 v[182:183], -0.5, v[62:63]
	v_add_f64 v[186:187], v[186:187], v[40:41]
	v_fma_f64 v[196:197], s[14:15], v[46:47], v[182:183]
	v_add_f64 v[40:41], v[40:41], -v[48:49]
	v_add_f64 v[48:49], v[64:65], -v[56:57]
	v_fmac_f64_e32 v[182:183], s[10:11], v[46:47]
	v_fmac_f64_e32 v[196:197], s[8:9], v[52:53]
	v_add_f64 v[40:41], v[40:41], v[48:49]
	v_fmac_f64_e32 v[182:183], s[12:13], v[52:53]
	v_fmac_f64_e32 v[196:197], s[0:1], v[40:41]
	;; [unrolled: 1-line block ×3, first 2 shown]
	v_add_f64 v[40:41], v[226:227], v[50:51]
	v_add_f64 v[40:41], v[40:41], v[42:43]
	;; [unrolled: 1-line block ×6, first 2 shown]
	v_fma_f64 v[62:63], -0.5, v[40:41], v[226:227]
	v_add_f64 v[40:41], v[44:45], -v[70:71]
	v_add_f64 v[186:187], v[186:187], v[56:57]
	v_fma_f64 v[64:65], s[14:15], v[40:41], v[62:63]
	v_add_f64 v[48:49], v[54:55], -v[60:61]
	v_add_f64 v[52:53], v[50:51], -v[42:43]
	;; [unrolled: 1-line block ×3, first 2 shown]
	v_fmac_f64_e32 v[62:63], s[10:11], v[40:41]
	v_fmac_f64_e32 v[64:65], s[12:13], v[48:49]
	v_add_f64 v[52:53], v[52:53], v[56:57]
	v_fmac_f64_e32 v[62:63], s[8:9], v[48:49]
	v_fmac_f64_e32 v[64:65], s[0:1], v[52:53]
	;; [unrolled: 1-line block ×3, first 2 shown]
	v_add_f64 v[52:53], v[50:51], v[58:59]
	v_fmac_f64_e32 v[226:227], -0.5, v[52:53]
	v_fma_f64 v[68:69], s[10:11], v[48:49], v[226:227]
	v_fmac_f64_e32 v[226:227], s[14:15], v[48:49]
	v_fmac_f64_e32 v[68:69], s[12:13], v[40:41]
	;; [unrolled: 1-line block ×3, first 2 shown]
	v_add_f64 v[40:41], v[184:185], v[44:45]
	v_add_f64 v[40:41], v[40:41], v[54:55]
	;; [unrolled: 1-line block ×3, first 2 shown]
	v_add_f64 v[52:53], v[42:43], -v[50:51]
	v_add_f64 v[56:57], v[66:67], -v[58:59]
	v_add_f64 v[198:199], v[40:41], v[70:71]
	v_add_f64 v[40:41], v[54:55], v[60:61]
	;; [unrolled: 1-line block ×3, first 2 shown]
	v_fma_f64 v[200:201], -0.5, v[40:41], v[184:185]
	v_add_f64 v[40:41], v[50:51], -v[58:59]
	v_fmac_f64_e32 v[68:69], s[0:1], v[52:53]
	v_fmac_f64_e32 v[226:227], s[0:1], v[52:53]
	v_fma_f64 v[50:51], s[10:11], v[40:41], v[200:201]
	v_add_f64 v[42:43], v[42:43], -v[66:67]
	v_add_f64 v[48:49], v[44:45], -v[54:55]
	v_add_f64 v[52:53], v[70:71], -v[60:61]
	v_fmac_f64_e32 v[200:201], s[14:15], v[40:41]
	v_fmac_f64_e32 v[50:51], s[8:9], v[42:43]
	v_add_f64 v[48:49], v[48:49], v[52:53]
	v_fmac_f64_e32 v[200:201], s[12:13], v[42:43]
	v_fmac_f64_e32 v[50:51], s[0:1], v[48:49]
	;; [unrolled: 1-line block ×3, first 2 shown]
	v_add_f64 v[48:49], v[44:45], v[70:71]
	v_fmac_f64_e32 v[184:185], -0.5, v[48:49]
	v_fma_f64 v[58:59], s[14:15], v[42:43], v[184:185]
	v_add_f64 v[44:45], v[54:55], -v[44:45]
	v_add_f64 v[48:49], v[60:61], -v[70:71]
	v_fmac_f64_e32 v[184:185], s[10:11], v[42:43]
	v_fmac_f64_e32 v[58:59], s[8:9], v[40:41]
	v_add_f64 v[44:45], v[44:45], v[48:49]
	v_fmac_f64_e32 v[184:185], s[12:13], v[40:41]
	v_fmac_f64_e32 v[58:59], s[0:1], v[44:45]
	;; [unrolled: 1-line block ×3, first 2 shown]
	v_mul_f64 v[44:45], v[50:51], s[12:13]
	v_mul_f64 v[66:67], v[58:59], s[14:15]
	;; [unrolled: 1-line block ×3, first 2 shown]
	s_mov_b32 s15, 0xbfd3c6ef
	s_mov_b32 s14, s0
	v_mul_f64 v[202:203], v[200:201], s[12:13]
	s_mov_b32 s13, 0xbfe9e377
	s_mov_b32 s12, s16
	v_mul_f64 v[204:205], v[50:51], s[16:17]
	v_mul_f64 v[206:207], v[58:59], s[0:1]
	;; [unrolled: 1-line block ×4, first 2 shown]
	v_fmac_f64_e32 v[44:45], s[16:17], v[64:65]
	v_fmac_f64_e32 v[66:67], s[0:1], v[68:69]
	;; [unrolled: 1-line block ×8, first 2 shown]
	v_add_f64 v[40:41], v[72:73], v[46:47]
	v_add_f64 v[48:49], v[188:189], v[44:45]
	;; [unrolled: 1-line block ×10, first 2 shown]
	v_add_f64 v[64:65], v[72:73], -v[46:47]
	v_add_f64 v[68:69], v[188:189], -v[44:45]
	v_add_f64 v[72:73], v[192:193], -v[66:67]
	v_add_f64 v[180:181], v[180:181], -v[70:71]
	v_add_f64 v[44:45], v[74:75], -v[202:203]
	v_add_f64 v[66:67], v[186:187], -v[198:199]
	v_add_f64 v[70:71], v[194:195], -v[204:205]
	v_add_f64 v[74:75], v[196:197], -v[206:207]
	v_add_f64 v[182:183], v[182:183], -v[184:185]
	v_add_f64 v[46:47], v[190:191], -v[200:201]
	s_barrier
	ds_write_b128 v234, v[40:43]
	ds_write_b128 v234, v[48:51] offset:80
	ds_write_b128 v234, v[52:55] offset:160
	;; [unrolled: 1-line block ×9, first 2 shown]
	s_waitcnt lgkmcnt(0)
	s_barrier
	ds_read_b128 v[56:59], v220
	ds_read_b128 v[180:183], v220 offset:7200
	ds_read_b128 v[60:63], v220 offset:14400
	ds_read_b128 v[52:55], v220 offset:2160
	ds_read_b128 v[64:67], v220 offset:9360
	ds_read_b128 v[68:71], v220 offset:16560
	ds_read_b128 v[48:51], v220 offset:4320
	ds_read_b128 v[72:75], v220 offset:11520
	ds_read_b128 v[40:43], v220 offset:18720
	s_and_saveexec_b64 s[0:1], vcc
	s_cbranch_execz .LBB0_15
; %bb.14:
	ds_read_b128 v[44:47], v220 offset:6480
	ds_read_b128 v[172:175], v220 offset:13680
	;; [unrolled: 1-line block ×3, first 2 shown]
.LBB0_15:
	s_or_b64 exec, exec, s[0:1]
	s_waitcnt lgkmcnt(7)
	v_mul_f64 v[184:185], v[82:83], v[182:183]
	v_mul_f64 v[82:83], v[82:83], v[180:181]
	v_fmac_f64_e32 v[184:185], v[80:81], v[180:181]
	v_fma_f64 v[80:81], v[80:81], v[182:183], -v[82:83]
	s_waitcnt lgkmcnt(6)
	v_mul_f64 v[82:83], v[78:79], v[62:63]
	v_fmac_f64_e32 v[82:83], v[76:77], v[60:61]
	v_mul_f64 v[60:61], v[78:79], v[60:61]
	v_fma_f64 v[76:77], v[76:77], v[62:63], -v[60:61]
	s_waitcnt lgkmcnt(4)
	v_mul_f64 v[78:79], v[90:91], v[66:67]
	v_mul_f64 v[60:61], v[90:91], v[64:65]
	s_waitcnt lgkmcnt(0)
	v_mul_f64 v[90:91], v[94:95], v[42:43]
	v_fmac_f64_e32 v[90:91], v[92:93], v[40:41]
	v_mul_f64 v[40:41], v[94:95], v[40:41]
	v_fma_f64 v[40:41], v[92:93], v[42:43], -v[40:41]
	v_mul_f64 v[42:43], v[106:107], v[172:173]
	v_fmac_f64_e32 v[78:79], v[88:89], v[64:65]
	v_fma_f64 v[64:65], v[88:89], v[66:67], -v[60:61]
	v_mul_f64 v[66:67], v[86:87], v[70:71]
	v_mul_f64 v[60:61], v[86:87], v[68:69]
	v_fma_f64 v[94:95], v[104:105], v[174:175], -v[42:43]
	v_mul_f64 v[42:43], v[102:103], v[176:177]
	v_fmac_f64_e32 v[66:67], v[84:85], v[68:69]
	v_fma_f64 v[84:85], v[84:85], v[70:71], -v[60:61]
	v_mul_f64 v[86:87], v[98:99], v[74:75]
	v_mul_f64 v[60:61], v[98:99], v[72:73]
	v_fma_f64 v[98:99], v[100:101], v[178:179], -v[42:43]
	v_add_f64 v[42:43], v[56:57], v[184:185]
	v_fma_f64 v[88:89], v[96:97], v[74:75], -v[60:61]
	v_add_f64 v[60:61], v[42:43], v[82:83]
	v_add_f64 v[42:43], v[184:185], v[82:83]
	s_mov_b32 s0, 0xe8584caa
	v_fmac_f64_e32 v[56:57], -0.5, v[42:43]
	v_add_f64 v[42:43], v[80:81], -v[76:77]
	s_mov_b32 s1, 0xbfebb67a
	s_mov_b32 s9, 0x3febb67a
	;; [unrolled: 1-line block ×3, first 2 shown]
	v_fma_f64 v[68:69], s[0:1], v[42:43], v[56:57]
	v_fmac_f64_e32 v[56:57], s[8:9], v[42:43]
	v_add_f64 v[42:43], v[58:59], v[80:81]
	v_add_f64 v[62:63], v[42:43], v[76:77]
	;; [unrolled: 1-line block ×3, first 2 shown]
	v_fmac_f64_e32 v[58:59], -0.5, v[42:43]
	v_add_f64 v[42:43], v[184:185], -v[82:83]
	v_fma_f64 v[70:71], s[8:9], v[42:43], v[58:59]
	v_fmac_f64_e32 v[58:59], s[0:1], v[42:43]
	v_add_f64 v[42:43], v[52:53], v[78:79]
	v_fmac_f64_e32 v[86:87], v[96:97], v[72:73]
	v_add_f64 v[72:73], v[42:43], v[66:67]
	v_add_f64 v[42:43], v[78:79], v[66:67]
	v_fmac_f64_e32 v[52:53], -0.5, v[42:43]
	v_add_f64 v[42:43], v[64:65], -v[84:85]
	v_fma_f64 v[76:77], s[0:1], v[42:43], v[52:53]
	v_fmac_f64_e32 v[52:53], s[8:9], v[42:43]
	v_add_f64 v[42:43], v[54:55], v[64:65]
	v_add_f64 v[74:75], v[42:43], v[84:85]
	v_add_f64 v[42:43], v[64:65], v[84:85]
	v_fmac_f64_e32 v[54:55], -0.5, v[42:43]
	v_add_f64 v[42:43], v[78:79], -v[66:67]
	v_fma_f64 v[78:79], s[8:9], v[42:43], v[54:55]
	v_fmac_f64_e32 v[54:55], s[0:1], v[42:43]
	v_add_f64 v[42:43], v[48:49], v[86:87]
	v_add_f64 v[80:81], v[42:43], v[90:91]
	v_add_f64 v[42:43], v[86:87], v[90:91]
	v_fmac_f64_e32 v[48:49], -0.5, v[42:43]
	v_add_f64 v[42:43], v[88:89], -v[40:41]
	v_mul_f64 v[92:93], v[106:107], v[174:175]
	v_mul_f64 v[96:97], v[102:103], v[178:179]
	v_fma_f64 v[84:85], s[0:1], v[42:43], v[48:49]
	v_fmac_f64_e32 v[48:49], s[8:9], v[42:43]
	v_add_f64 v[42:43], v[50:51], v[88:89]
	v_fmac_f64_e32 v[92:93], v[104:105], v[172:173]
	v_fmac_f64_e32 v[96:97], v[100:101], v[176:177]
	v_add_f64 v[82:83], v[42:43], v[40:41]
	v_add_f64 v[40:41], v[88:89], v[40:41]
	v_fmac_f64_e32 v[50:51], -0.5, v[40:41]
	v_add_f64 v[40:41], v[86:87], -v[90:91]
	v_add_f64 v[42:43], v[92:93], v[96:97]
	v_fma_f64 v[86:87], s[8:9], v[40:41], v[50:51]
	v_fmac_f64_e32 v[50:51], s[0:1], v[40:41]
	v_add_f64 v[40:41], v[44:45], v[92:93]
	v_fmac_f64_e32 v[44:45], -0.5, v[42:43]
	v_add_f64 v[42:43], v[94:95], -v[98:99]
	v_add_f64 v[66:67], v[94:95], v[98:99]
	v_fma_f64 v[64:65], s[0:1], v[42:43], v[44:45]
	v_fmac_f64_e32 v[44:45], s[8:9], v[42:43]
	v_add_f64 v[42:43], v[46:47], v[94:95]
	v_fmac_f64_e32 v[46:47], -0.5, v[66:67]
	v_add_f64 v[88:89], v[92:93], -v[96:97]
	v_add_f64 v[40:41], v[40:41], v[96:97]
	v_add_f64 v[42:43], v[42:43], v[98:99]
	v_fma_f64 v[66:67], s[8:9], v[88:89], v[46:47]
	v_fmac_f64_e32 v[46:47], s[0:1], v[88:89]
	s_barrier
	ds_write_b128 v236, v[60:63]
	ds_write_b128 v236, v[68:71] offset:800
	ds_write_b128 v236, v[56:59] offset:1600
	ds_write_b128 v237, v[72:75]
	ds_write_b128 v237, v[76:79] offset:800
	ds_write_b128 v237, v[52:55] offset:1600
	;; [unrolled: 3-line block ×3, first 2 shown]
	s_and_saveexec_b64 s[0:1], vcc
	s_cbranch_execz .LBB0_17
; %bb.16:
	ds_write_b128 v235, v[40:43] offset:19200
	ds_write_b128 v235, v[64:67] offset:20000
	;; [unrolled: 1-line block ×3, first 2 shown]
.LBB0_17:
	s_or_b64 exec, exec, s[0:1]
	s_waitcnt lgkmcnt(0)
	s_barrier
	ds_read_b128 v[60:63], v220
	ds_read_b128 v[56:59], v220 offset:2160
	ds_read_b128 v[76:79], v220 offset:14400
	;; [unrolled: 1-line block ×8, first 2 shown]
	s_and_saveexec_b64 s[0:1], vcc
	s_cbranch_execz .LBB0_19
; %bb.18:
	ds_read_b128 v[40:43], v220 offset:6480
	ds_read_b128 v[64:67], v220 offset:13680
	;; [unrolled: 1-line block ×3, first 2 shown]
.LBB0_19:
	s_or_b64 exec, exec, s[0:1]
	s_waitcnt lgkmcnt(4)
	v_mul_f64 v[88:89], v[114:115], v[86:87]
	s_waitcnt lgkmcnt(0)
	v_mul_f64 v[96:97], v[126:127], v[50:51]
	v_fmac_f64_e32 v[88:89], v[112:113], v[84:85]
	v_mul_f64 v[84:85], v[114:115], v[84:85]
	v_fmac_f64_e32 v[96:97], v[124:125], v[48:49]
	v_mul_f64 v[48:49], v[126:127], v[48:49]
	v_mul_f64 v[100:101], v[130:131], v[46:47]
	v_fma_f64 v[84:85], v[112:113], v[86:87], -v[84:85]
	v_mul_f64 v[86:87], v[110:111], v[78:79]
	v_fma_f64 v[48:49], v[124:125], v[50:51], -v[48:49]
	v_mul_f64 v[50:51], v[134:135], v[66:67]
	v_fmac_f64_e32 v[100:101], v[128:129], v[44:45]
	v_mul_f64 v[44:45], v[130:131], v[44:45]
	v_fmac_f64_e32 v[86:87], v[108:109], v[76:77]
	;; [unrolled: 2-line block ×3, first 2 shown]
	v_mul_f64 v[64:65], v[134:135], v[64:65]
	v_fma_f64 v[102:103], v[128:129], v[46:47], -v[44:45]
	v_add_f64 v[44:45], v[60:61], v[88:89]
	v_fma_f64 v[76:77], v[108:109], v[78:79], -v[76:77]
	v_mul_f64 v[92:93], v[138:139], v[70:71]
	v_fma_f64 v[98:99], v[132:133], v[66:67], -v[64:65]
	v_add_f64 v[64:65], v[44:45], v[86:87]
	v_add_f64 v[44:45], v[88:89], v[86:87]
	s_mov_b32 s0, 0xe8584caa
	v_fmac_f64_e32 v[92:93], v[136:137], v[68:69]
	v_mul_f64 v[68:69], v[138:139], v[68:69]
	v_fmac_f64_e32 v[60:61], -0.5, v[44:45]
	v_add_f64 v[44:45], v[84:85], -v[76:77]
	s_mov_b32 s1, 0xbfebb67a
	s_mov_b32 s8, s0
	v_mul_f64 v[78:79], v[122:123], v[82:83]
	v_fma_f64 v[94:95], v[136:137], v[70:71], -v[68:69]
	v_fma_f64 v[68:69], s[0:1], v[44:45], v[60:61]
	v_fmac_f64_e32 v[60:61], s[8:9], v[44:45]
	v_add_f64 v[44:45], v[62:63], v[84:85]
	v_fmac_f64_e32 v[78:79], v[120:121], v[80:81]
	v_mul_f64 v[80:81], v[122:123], v[80:81]
	v_add_f64 v[66:67], v[44:45], v[76:77]
	v_add_f64 v[44:45], v[84:85], v[76:77]
	v_fma_f64 v[80:81], v[120:121], v[82:83], -v[80:81]
	v_mul_f64 v[82:83], v[118:119], v[74:75]
	v_fmac_f64_e32 v[62:63], -0.5, v[44:45]
	v_add_f64 v[44:45], v[88:89], -v[86:87]
	v_fmac_f64_e32 v[82:83], v[116:117], v[72:73]
	v_mul_f64 v[72:73], v[118:119], v[72:73]
	v_fma_f64 v[70:71], s[8:9], v[44:45], v[62:63]
	v_fmac_f64_e32 v[62:63], s[0:1], v[44:45]
	v_add_f64 v[44:45], v[56:57], v[78:79]
	v_fma_f64 v[90:91], v[116:117], v[74:75], -v[72:73]
	v_add_f64 v[72:73], v[44:45], v[82:83]
	v_add_f64 v[44:45], v[78:79], v[82:83]
	v_fmac_f64_e32 v[56:57], -0.5, v[44:45]
	v_add_f64 v[44:45], v[80:81], -v[90:91]
	v_fma_f64 v[76:77], s[0:1], v[44:45], v[56:57]
	v_fmac_f64_e32 v[56:57], s[8:9], v[44:45]
	v_add_f64 v[44:45], v[58:59], v[80:81]
	v_add_f64 v[74:75], v[44:45], v[90:91]
	v_add_f64 v[44:45], v[80:81], v[90:91]
	v_fmac_f64_e32 v[58:59], -0.5, v[44:45]
	v_add_f64 v[44:45], v[78:79], -v[82:83]
	v_fma_f64 v[78:79], s[8:9], v[44:45], v[58:59]
	v_fmac_f64_e32 v[58:59], s[0:1], v[44:45]
	v_add_f64 v[44:45], v[52:53], v[92:93]
	;; [unrolled: 7-line block ×3, first 2 shown]
	v_add_f64 v[82:83], v[44:45], v[48:49]
	v_add_f64 v[44:45], v[94:95], v[48:49]
	v_fmac_f64_e32 v[54:55], -0.5, v[44:45]
	v_add_f64 v[44:45], v[92:93], -v[96:97]
	v_add_f64 v[46:47], v[50:51], v[100:101]
	v_fma_f64 v[86:87], s[8:9], v[44:45], v[54:55]
	v_fmac_f64_e32 v[54:55], s[0:1], v[44:45]
	v_add_f64 v[44:45], v[40:41], v[50:51]
	v_fmac_f64_e32 v[40:41], -0.5, v[46:47]
	v_add_f64 v[46:47], v[98:99], -v[102:103]
	v_add_f64 v[88:89], v[98:99], v[102:103]
	v_fma_f64 v[48:49], s[0:1], v[46:47], v[40:41]
	v_fmac_f64_e32 v[40:41], s[8:9], v[46:47]
	v_add_f64 v[46:47], v[42:43], v[98:99]
	v_fmac_f64_e32 v[42:43], -0.5, v[88:89]
	v_add_f64 v[88:89], v[50:51], -v[100:101]
	v_add_f64 v[44:45], v[44:45], v[100:101]
	v_add_f64 v[46:47], v[46:47], v[102:103]
	v_fma_f64 v[50:51], s[8:9], v[88:89], v[42:43]
	v_fmac_f64_e32 v[42:43], s[0:1], v[88:89]
	s_barrier
	ds_write_b128 v220, v[64:67]
	ds_write_b128 v220, v[68:71] offset:2400
	ds_write_b128 v220, v[60:63] offset:4800
	ds_write_b128 v240, v[72:75]
	ds_write_b128 v240, v[76:79] offset:2400
	ds_write_b128 v240, v[56:59] offset:4800
	ds_write_b128 v241, v[80:83]
	ds_write_b128 v241, v[84:87] offset:2400
	ds_write_b128 v241, v[52:55] offset:4800
	s_and_saveexec_b64 s[0:1], vcc
	s_cbranch_execz .LBB0_21
; %bb.20:
	ds_write_b128 v239, v[44:47] offset:14400
	ds_write_b128 v239, v[48:51] offset:16800
	;; [unrolled: 1-line block ×3, first 2 shown]
.LBB0_21:
	s_or_b64 exec, exec, s[0:1]
	s_waitcnt lgkmcnt(0)
	s_barrier
	ds_read_b128 v[60:63], v220
	ds_read_b128 v[56:59], v220 offset:2160
	ds_read_b128 v[76:79], v220 offset:14400
	;; [unrolled: 1-line block ×8, first 2 shown]
	s_and_saveexec_b64 s[0:1], vcc
	s_cbranch_execz .LBB0_23
; %bb.22:
	ds_read_b128 v[44:47], v220 offset:6480
	ds_read_b128 v[48:51], v220 offset:13680
	ds_read_b128 v[40:43], v220 offset:20880
.LBB0_23:
	s_or_b64 exec, exec, s[0:1]
	s_waitcnt lgkmcnt(4)
	v_mul_f64 v[88:89], v[150:151], v[86:87]
	v_fmac_f64_e32 v[88:89], v[148:149], v[84:85]
	v_mul_f64 v[84:85], v[150:151], v[84:85]
	v_fma_f64 v[84:85], v[148:149], v[86:87], -v[84:85]
	v_mul_f64 v[86:87], v[154:155], v[78:79]
	v_fmac_f64_e32 v[86:87], v[152:153], v[76:77]
	v_mul_f64 v[76:77], v[154:155], v[76:77]
	v_fma_f64 v[76:77], v[152:153], v[78:79], -v[76:77]
	s_waitcnt lgkmcnt(2)
	v_mul_f64 v[78:79], v[158:159], v[82:83]
	s_waitcnt lgkmcnt(0)
	v_mul_f64 v[96:97], v[170:171], v[66:67]
	v_fmac_f64_e32 v[78:79], v[156:157], v[80:81]
	v_mul_f64 v[80:81], v[158:159], v[80:81]
	v_mul_f64 v[92:93], v[166:167], v[70:71]
	v_fmac_f64_e32 v[96:97], v[168:169], v[64:65]
	v_mul_f64 v[64:65], v[170:171], v[64:65]
	v_fma_f64 v[80:81], v[156:157], v[82:83], -v[80:81]
	v_mul_f64 v[82:83], v[162:163], v[74:75]
	v_fmac_f64_e32 v[92:93], v[164:165], v[68:69]
	v_mul_f64 v[68:69], v[166:167], v[68:69]
	v_fma_f64 v[98:99], v[168:169], v[66:67], -v[64:65]
	v_add_f64 v[66:67], v[88:89], v[86:87]
	s_mov_b32 s0, 0xe8584caa
	v_fmac_f64_e32 v[82:83], v[160:161], v[72:73]
	v_mul_f64 v[72:73], v[162:163], v[72:73]
	v_fma_f64 v[94:95], v[164:165], v[70:71], -v[68:69]
	v_add_f64 v[64:65], v[60:61], v[88:89]
	v_fmac_f64_e32 v[60:61], -0.5, v[66:67]
	v_add_f64 v[66:67], v[84:85], -v[76:77]
	s_mov_b32 s1, 0xbfebb67a
	s_mov_b32 s8, s0
	v_add_f64 v[70:71], v[84:85], v[76:77]
	v_fma_f64 v[90:91], v[160:161], v[74:75], -v[72:73]
	v_fma_f64 v[68:69], s[0:1], v[66:67], v[60:61]
	v_fmac_f64_e32 v[60:61], s[8:9], v[66:67]
	v_add_f64 v[66:67], v[62:63], v[84:85]
	v_fmac_f64_e32 v[62:63], -0.5, v[70:71]
	v_add_f64 v[72:73], v[88:89], -v[86:87]
	v_add_f64 v[74:75], v[78:79], v[82:83]
	v_fma_f64 v[70:71], s[8:9], v[72:73], v[62:63]
	v_fmac_f64_e32 v[62:63], s[0:1], v[72:73]
	v_add_f64 v[72:73], v[56:57], v[78:79]
	v_fmac_f64_e32 v[56:57], -0.5, v[74:75]
	v_add_f64 v[74:75], v[80:81], -v[90:91]
	v_add_f64 v[66:67], v[66:67], v[76:77]
	v_fma_f64 v[76:77], s[0:1], v[74:75], v[56:57]
	v_fmac_f64_e32 v[56:57], s[8:9], v[74:75]
	v_add_f64 v[74:75], v[58:59], v[80:81]
	v_add_f64 v[80:81], v[80:81], v[90:91]
	;; [unrolled: 1-line block ×3, first 2 shown]
	v_fmac_f64_e32 v[58:59], -0.5, v[80:81]
	v_add_f64 v[80:81], v[78:79], -v[82:83]
	v_add_f64 v[82:83], v[92:93], v[96:97]
	v_add_f64 v[64:65], v[64:65], v[86:87]
	v_fma_f64 v[78:79], s[8:9], v[80:81], v[58:59]
	v_fmac_f64_e32 v[58:59], s[0:1], v[80:81]
	v_add_f64 v[80:81], v[52:53], v[92:93]
	v_fmac_f64_e32 v[52:53], -0.5, v[82:83]
	v_add_f64 v[82:83], v[94:95], -v[98:99]
	v_add_f64 v[86:87], v[94:95], v[98:99]
	v_fma_f64 v[84:85], s[0:1], v[82:83], v[52:53]
	v_fmac_f64_e32 v[52:53], s[8:9], v[82:83]
	v_add_f64 v[82:83], v[54:55], v[94:95]
	v_fmac_f64_e32 v[54:55], -0.5, v[86:87]
	v_add_f64 v[88:89], v[92:93], -v[96:97]
	v_add_f64 v[74:75], v[74:75], v[90:91]
	v_add_f64 v[80:81], v[80:81], v[96:97]
	;; [unrolled: 1-line block ×3, first 2 shown]
	v_fma_f64 v[86:87], s[8:9], v[88:89], v[54:55]
	v_fmac_f64_e32 v[54:55], s[0:1], v[88:89]
	ds_write_b128 v220, v[64:67]
	ds_write_b128 v220, v[68:71] offset:7200
	ds_write_b128 v220, v[60:63] offset:14400
	;; [unrolled: 1-line block ×8, first 2 shown]
	s_and_saveexec_b64 s[10:11], vcc
	s_cbranch_execz .LBB0_25
; %bb.24:
	v_mul_f64 v[52:53], v[142:143], v[48:49]
	v_fma_f64 v[54:55], v[140:141], v[50:51], -v[52:53]
	v_mul_f64 v[52:53], v[146:147], v[40:41]
	v_mul_f64 v[58:59], v[142:143], v[50:51]
	v_fma_f64 v[56:57], v[144:145], v[42:43], -v[52:53]
	v_fmac_f64_e32 v[58:59], v[140:141], v[48:49]
	v_mul_f64 v[48:49], v[146:147], v[42:43]
	v_add_f64 v[52:53], v[54:55], v[56:57]
	v_fmac_f64_e32 v[48:49], v[144:145], v[40:41]
	v_fma_f64 v[52:53], -0.5, v[52:53], v[46:47]
	v_add_f64 v[40:41], v[58:59], -v[48:49]
	v_fma_f64 v[42:43], s[0:1], v[40:41], v[52:53]
	v_fmac_f64_e32 v[52:53], s[8:9], v[40:41]
	v_add_f64 v[40:41], v[46:47], v[54:55]
	v_add_f64 v[46:47], v[40:41], v[56:57]
	;; [unrolled: 1-line block ×3, first 2 shown]
	v_fma_f64 v[50:51], -0.5, v[40:41], v[44:45]
	v_add_f64 v[44:45], v[44:45], v[58:59]
	v_add_f64 v[54:55], v[54:55], -v[56:57]
	v_add_f64 v[44:45], v[44:45], v[48:49]
	v_fma_f64 v[40:41], s[8:9], v[54:55], v[50:51]
	v_fmac_f64_e32 v[50:51], s[0:1], v[54:55]
	ds_write_b128 v220, v[44:47] offset:6480
	ds_write_b128 v220, v[50:53] offset:13680
	;; [unrolled: 1-line block ×3, first 2 shown]
.LBB0_25:
	s_or_b64 exec, exec, s[10:11]
	s_waitcnt lgkmcnt(0)
	s_barrier
	ds_read_b128 v[40:43], v220
	v_mad_u64_u32 v[54:55], s[0:1], s6, v224, 0
	v_mov_b32_e32 v44, v55
	v_mad_u64_u32 v[44:45], s[0:1], s7, v224, v[44:45]
	v_mov_b32_e32 v55, v44
	ds_read_b128 v[44:47], v220 offset:2160
	s_waitcnt lgkmcnt(1)
	v_mul_f64 v[48:49], v[2:3], v[42:43]
	s_mov_b32 s0, 0xa0ce5129
	v_mul_f64 v[2:3], v[2:3], v[40:41]
	v_mov_b32_e32 v52, s2
	v_mov_b32_e32 v53, s3
	v_fmac_f64_e32 v[48:49], v[0:1], v[40:41]
	s_mov_b32 s1, 0x3f4845c8
	v_fma_f64 v[0:1], v[0:1], v[42:43], -v[2:3]
	v_mad_u64_u32 v[40:41], s[2:3], s4, v222, 0
	v_mul_f64 v[50:51], v[0:1], s[0:1]
	v_mov_b32_e32 v0, v41
	v_mad_u64_u32 v[0:1], s[2:3], s5, v222, v[0:1]
	v_mov_b32_e32 v41, v0
	ds_read_b128 v[0:3], v220 offset:4320
	v_lshl_add_u64 v[42:43], v[54:55], 4, v[52:53]
	v_mul_f64 v[48:49], v[48:49], s[0:1]
	v_lshl_add_u64 v[52:53], v[40:41], 4, v[42:43]
	ds_read_b128 v[40:43], v220 offset:6480
	global_store_dwordx4 v[52:53], v[48:51], off
	v_mov_b32_e32 v54, 0x10e0
	v_mad_u64_u32 v[52:53], s[2:3], s4, v54, v[52:53]
	s_waitcnt lgkmcnt(1)
	v_mul_f64 v[48:49], v[6:7], v[2:3]
	v_fmac_f64_e32 v[48:49], v[4:5], v[0:1]
	v_mul_f64 v[0:1], v[6:7], v[0:1]
	v_fma_f64 v[0:1], v[4:5], v[2:3], -v[0:1]
	v_mul_f64 v[50:51], v[0:1], s[0:1]
	ds_read_b128 v[0:3], v220 offset:8640
	ds_read_b128 v[4:7], v220 offset:10800
	s_mul_i32 s6, s5, 0x10e0
	v_mul_f64 v[48:49], v[48:49], s[0:1]
	v_add_u32_e32 v53, s6, v53
	global_store_dwordx4 v[52:53], v[48:51], off
	v_mad_u64_u32 v[52:53], s[2:3], s4, v54, v[52:53]
	s_waitcnt lgkmcnt(1)
	v_mul_f64 v[48:49], v[10:11], v[2:3]
	v_fmac_f64_e32 v[48:49], v[8:9], v[0:1]
	v_mul_f64 v[0:1], v[10:11], v[0:1]
	v_fma_f64 v[0:1], v[8:9], v[2:3], -v[0:1]
	v_mul_f64 v[50:51], v[0:1], s[0:1]
	ds_read_b128 v[0:3], v220 offset:12960
	ds_read_b128 v[8:11], v220 offset:15120
	v_mul_f64 v[48:49], v[48:49], s[0:1]
	v_add_u32_e32 v53, s6, v53
	global_store_dwordx4 v[52:53], v[48:51], off
	v_mad_u64_u32 v[52:53], s[2:3], s4, v54, v[52:53]
	s_waitcnt lgkmcnt(1)
	v_mul_f64 v[48:49], v[14:15], v[2:3]
	v_fmac_f64_e32 v[48:49], v[12:13], v[0:1]
	v_mul_f64 v[0:1], v[14:15], v[0:1]
	v_fma_f64 v[0:1], v[12:13], v[2:3], -v[0:1]
	v_mul_f64 v[50:51], v[0:1], s[0:1]
	ds_read_b128 v[0:3], v220 offset:17280
	ds_read_b128 v[12:15], v220 offset:19440
	v_mul_f64 v[48:49], v[48:49], s[0:1]
	v_add_u32_e32 v53, s6, v53
	global_store_dwordx4 v[52:53], v[48:51], off
	s_waitcnt lgkmcnt(1)
	s_nop 0
	v_mul_f64 v[48:49], v[18:19], v[2:3]
	v_fmac_f64_e32 v[48:49], v[16:17], v[0:1]
	v_mul_f64 v[0:1], v[18:19], v[0:1]
	v_fma_f64 v[0:1], v[16:17], v[2:3], -v[0:1]
	v_mad_u64_u32 v[16:17], s[2:3], s4, v54, v[52:53]
	v_mul_f64 v[48:49], v[48:49], s[0:1]
	v_mul_f64 v[50:51], v[0:1], s[0:1]
	v_add_u32_e32 v17, s6, v17
	v_mov_b32_e32 v18, 0xffffc4f0
	global_store_dwordx4 v[16:17], v[48:51], off
	v_mad_u64_u32 v[16:17], s[2:3], s4, v18, v[16:17]
	v_mul_f64 v[0:1], v[22:23], v[46:47]
	v_mul_f64 v[2:3], v[22:23], v[44:45]
	s_mul_i32 s2, s5, 0xffffc4f0
	v_fmac_f64_e32 v[0:1], v[20:21], v[44:45]
	v_fma_f64 v[2:3], v[20:21], v[46:47], -v[2:3]
	s_sub_i32 s2, s2, s4
	v_mul_f64 v[0:1], v[0:1], s[0:1]
	v_mul_f64 v[2:3], v[2:3], s[0:1]
	v_add_u32_e32 v17, s2, v17
	global_store_dwordx4 v[16:17], v[0:3], off
	v_mad_u64_u32 v[16:17], s[2:3], s4, v54, v[16:17]
	s_nop 0
	v_mul_f64 v[0:1], v[26:27], v[42:43]
	v_mul_f64 v[2:3], v[26:27], v[40:41]
	v_fmac_f64_e32 v[0:1], v[24:25], v[40:41]
	v_fma_f64 v[2:3], v[24:25], v[42:43], -v[2:3]
	v_mul_f64 v[0:1], v[0:1], s[0:1]
	v_mul_f64 v[2:3], v[2:3], s[0:1]
	v_add_u32_e32 v17, s6, v17
	global_store_dwordx4 v[16:17], v[0:3], off
	s_nop 1
	v_mul_f64 v[0:1], v[30:31], v[6:7]
	v_mul_f64 v[2:3], v[30:31], v[4:5]
	v_fmac_f64_e32 v[0:1], v[28:29], v[4:5]
	v_fma_f64 v[2:3], v[28:29], v[6:7], -v[2:3]
	v_mad_u64_u32 v[4:5], s[2:3], s4, v54, v[16:17]
	v_mul_f64 v[0:1], v[0:1], s[0:1]
	v_mul_f64 v[2:3], v[2:3], s[0:1]
	v_add_u32_e32 v5, s6, v5
	global_store_dwordx4 v[4:5], v[0:3], off
	v_mad_u64_u32 v[4:5], s[2:3], s4, v54, v[4:5]
	s_nop 0
	v_mul_f64 v[0:1], v[34:35], v[10:11]
	v_mul_f64 v[2:3], v[34:35], v[8:9]
	v_fmac_f64_e32 v[0:1], v[32:33], v[8:9]
	v_fma_f64 v[2:3], v[32:33], v[10:11], -v[2:3]
	v_mul_f64 v[0:1], v[0:1], s[0:1]
	v_mul_f64 v[2:3], v[2:3], s[0:1]
	v_add_u32_e32 v5, s6, v5
	global_store_dwordx4 v[4:5], v[0:3], off
	s_waitcnt lgkmcnt(0)
	s_nop 0
	v_mul_f64 v[0:1], v[38:39], v[14:15]
	v_mul_f64 v[2:3], v[38:39], v[12:13]
	v_fmac_f64_e32 v[0:1], v[36:37], v[12:13]
	v_fma_f64 v[2:3], v[36:37], v[14:15], -v[2:3]
	v_mul_f64 v[0:1], v[0:1], s[0:1]
	v_mul_f64 v[2:3], v[2:3], s[0:1]
	v_mad_u64_u32 v[4:5], s[0:1], s4, v54, v[4:5]
	v_add_u32_e32 v5, s6, v5
	global_store_dwordx4 v[4:5], v[0:3], off
.LBB0_26:
	s_endpgm
	.section	.rodata,"a",@progbits
	.p2align	6, 0x0
	.amdhsa_kernel bluestein_single_back_len1350_dim1_dp_op_CI_CI
		.amdhsa_group_segment_fixed_size 21600
		.amdhsa_private_segment_fixed_size 0
		.amdhsa_kernarg_size 104
		.amdhsa_user_sgpr_count 2
		.amdhsa_user_sgpr_dispatch_ptr 0
		.amdhsa_user_sgpr_queue_ptr 0
		.amdhsa_user_sgpr_kernarg_segment_ptr 1
		.amdhsa_user_sgpr_dispatch_id 0
		.amdhsa_user_sgpr_kernarg_preload_length 0
		.amdhsa_user_sgpr_kernarg_preload_offset 0
		.amdhsa_user_sgpr_private_segment_size 0
		.amdhsa_uses_dynamic_stack 0
		.amdhsa_enable_private_segment 0
		.amdhsa_system_sgpr_workgroup_id_x 1
		.amdhsa_system_sgpr_workgroup_id_y 0
		.amdhsa_system_sgpr_workgroup_id_z 0
		.amdhsa_system_sgpr_workgroup_info 0
		.amdhsa_system_vgpr_workitem_id 0
		.amdhsa_next_free_vgpr 254
		.amdhsa_next_free_sgpr 22
		.amdhsa_accum_offset 256
		.amdhsa_reserve_vcc 1
		.amdhsa_float_round_mode_32 0
		.amdhsa_float_round_mode_16_64 0
		.amdhsa_float_denorm_mode_32 3
		.amdhsa_float_denorm_mode_16_64 3
		.amdhsa_dx10_clamp 1
		.amdhsa_ieee_mode 1
		.amdhsa_fp16_overflow 0
		.amdhsa_tg_split 0
		.amdhsa_exception_fp_ieee_invalid_op 0
		.amdhsa_exception_fp_denorm_src 0
		.amdhsa_exception_fp_ieee_div_zero 0
		.amdhsa_exception_fp_ieee_overflow 0
		.amdhsa_exception_fp_ieee_underflow 0
		.amdhsa_exception_fp_ieee_inexact 0
		.amdhsa_exception_int_div_zero 0
	.end_amdhsa_kernel
	.text
.Lfunc_end0:
	.size	bluestein_single_back_len1350_dim1_dp_op_CI_CI, .Lfunc_end0-bluestein_single_back_len1350_dim1_dp_op_CI_CI
                                        ; -- End function
	.section	.AMDGPU.csdata,"",@progbits
; Kernel info:
; codeLenInByte = 13804
; NumSgprs: 28
; NumVgprs: 254
; NumAgprs: 0
; TotalNumVgprs: 254
; ScratchSize: 0
; MemoryBound: 0
; FloatMode: 240
; IeeeMode: 1
; LDSByteSize: 21600 bytes/workgroup (compile time only)
; SGPRBlocks: 3
; VGPRBlocks: 31
; NumSGPRsForWavesPerEU: 28
; NumVGPRsForWavesPerEU: 254
; AccumOffset: 256
; Occupancy: 2
; WaveLimiterHint : 1
; COMPUTE_PGM_RSRC2:SCRATCH_EN: 0
; COMPUTE_PGM_RSRC2:USER_SGPR: 2
; COMPUTE_PGM_RSRC2:TRAP_HANDLER: 0
; COMPUTE_PGM_RSRC2:TGID_X_EN: 1
; COMPUTE_PGM_RSRC2:TGID_Y_EN: 0
; COMPUTE_PGM_RSRC2:TGID_Z_EN: 0
; COMPUTE_PGM_RSRC2:TIDIG_COMP_CNT: 0
; COMPUTE_PGM_RSRC3_GFX90A:ACCUM_OFFSET: 63
; COMPUTE_PGM_RSRC3_GFX90A:TG_SPLIT: 0
	.text
	.p2alignl 6, 3212836864
	.fill 256, 4, 3212836864
	.type	__hip_cuid_783a06b2a7936f17,@object ; @__hip_cuid_783a06b2a7936f17
	.section	.bss,"aw",@nobits
	.globl	__hip_cuid_783a06b2a7936f17
__hip_cuid_783a06b2a7936f17:
	.byte	0                               ; 0x0
	.size	__hip_cuid_783a06b2a7936f17, 1

	.ident	"AMD clang version 19.0.0git (https://github.com/RadeonOpenCompute/llvm-project roc-6.4.0 25133 c7fe45cf4b819c5991fe208aaa96edf142730f1d)"
	.section	".note.GNU-stack","",@progbits
	.addrsig
	.addrsig_sym __hip_cuid_783a06b2a7936f17
	.amdgpu_metadata
---
amdhsa.kernels:
  - .agpr_count:     0
    .args:
      - .actual_access:  read_only
        .address_space:  global
        .offset:         0
        .size:           8
        .value_kind:     global_buffer
      - .actual_access:  read_only
        .address_space:  global
        .offset:         8
        .size:           8
        .value_kind:     global_buffer
      - .actual_access:  read_only
        .address_space:  global
        .offset:         16
        .size:           8
        .value_kind:     global_buffer
      - .actual_access:  read_only
        .address_space:  global
        .offset:         24
        .size:           8
        .value_kind:     global_buffer
      - .actual_access:  read_only
        .address_space:  global
        .offset:         32
        .size:           8
        .value_kind:     global_buffer
      - .offset:         40
        .size:           8
        .value_kind:     by_value
      - .address_space:  global
        .offset:         48
        .size:           8
        .value_kind:     global_buffer
      - .address_space:  global
        .offset:         56
        .size:           8
        .value_kind:     global_buffer
      - .address_space:  global
        .offset:         64
        .size:           8
        .value_kind:     global_buffer
      - .address_space:  global
        .offset:         72
        .size:           8
        .value_kind:     global_buffer
      - .offset:         80
        .size:           4
        .value_kind:     by_value
      - .address_space:  global
        .offset:         88
        .size:           8
        .value_kind:     global_buffer
      - .address_space:  global
        .offset:         96
        .size:           8
        .value_kind:     global_buffer
    .group_segment_fixed_size: 21600
    .kernarg_segment_align: 8
    .kernarg_segment_size: 104
    .language:       OpenCL C
    .language_version:
      - 2
      - 0
    .max_flat_workgroup_size: 135
    .name:           bluestein_single_back_len1350_dim1_dp_op_CI_CI
    .private_segment_fixed_size: 0
    .sgpr_count:     28
    .sgpr_spill_count: 0
    .symbol:         bluestein_single_back_len1350_dim1_dp_op_CI_CI.kd
    .uniform_work_group_size: 1
    .uses_dynamic_stack: false
    .vgpr_count:     254
    .vgpr_spill_count: 0
    .wavefront_size: 64
amdhsa.target:   amdgcn-amd-amdhsa--gfx950
amdhsa.version:
  - 1
  - 2
...

	.end_amdgpu_metadata
